;; amdgpu-corpus repo=ROCm/rocFFT kind=compiled arch=gfx1201 opt=O3
	.text
	.amdgcn_target "amdgcn-amd-amdhsa--gfx1201"
	.amdhsa_code_object_version 6
	.protected	fft_rtc_back_len1890_factors_2_3_3_3_7_5_wgs_126_tpt_126_halfLds_dp_ip_CI_unitstride_sbrr_R2C_dirReg ; -- Begin function fft_rtc_back_len1890_factors_2_3_3_3_7_5_wgs_126_tpt_126_halfLds_dp_ip_CI_unitstride_sbrr_R2C_dirReg
	.globl	fft_rtc_back_len1890_factors_2_3_3_3_7_5_wgs_126_tpt_126_halfLds_dp_ip_CI_unitstride_sbrr_R2C_dirReg
	.p2align	8
	.type	fft_rtc_back_len1890_factors_2_3_3_3_7_5_wgs_126_tpt_126_halfLds_dp_ip_CI_unitstride_sbrr_R2C_dirReg,@function
fft_rtc_back_len1890_factors_2_3_3_3_7_5_wgs_126_tpt_126_halfLds_dp_ip_CI_unitstride_sbrr_R2C_dirReg: ; @fft_rtc_back_len1890_factors_2_3_3_3_7_5_wgs_126_tpt_126_halfLds_dp_ip_CI_unitstride_sbrr_R2C_dirReg
; %bb.0:
	s_clause 0x2
	s_load_b128 s[4:7], s[0:1], 0x0
	s_load_b64 s[8:9], s[0:1], 0x50
	s_load_b64 s[10:11], s[0:1], 0x18
	v_mul_u32_u24_e32 v1, 0x209, v0
	v_mov_b32_e32 v3, 0
	s_delay_alu instid0(VALU_DEP_2) | instskip(NEXT) | instid1(VALU_DEP_1)
	v_lshrrev_b32_e32 v1, 16, v1
	v_add_nc_u32_e32 v5, ttmp9, v1
	v_mov_b32_e32 v1, 0
	v_mov_b32_e32 v2, 0
	;; [unrolled: 1-line block ×3, first 2 shown]
	s_wait_kmcnt 0x0
	v_cmp_lt_u64_e64 s2, s[6:7], 2
	s_delay_alu instid0(VALU_DEP_1)
	s_and_b32 vcc_lo, exec_lo, s2
	s_cbranch_vccnz .LBB0_8
; %bb.1:
	s_load_b64 s[2:3], s[0:1], 0x10
	v_mov_b32_e32 v1, 0
	v_mov_b32_e32 v2, 0
	s_add_nc_u64 s[12:13], s[10:11], 8
	s_mov_b64 s[14:15], 1
	s_wait_kmcnt 0x0
	s_add_nc_u64 s[16:17], s[2:3], 8
	s_mov_b32 s3, 0
.LBB0_2:                                ; =>This Inner Loop Header: Depth=1
	s_load_b64 s[18:19], s[16:17], 0x0
                                        ; implicit-def: $vgpr7_vgpr8
	s_mov_b32 s2, exec_lo
	s_wait_kmcnt 0x0
	v_or_b32_e32 v4, s19, v6
	s_delay_alu instid0(VALU_DEP_1)
	v_cmpx_ne_u64_e32 0, v[3:4]
	s_wait_alu 0xfffe
	s_xor_b32 s20, exec_lo, s2
	s_cbranch_execz .LBB0_4
; %bb.3:                                ;   in Loop: Header=BB0_2 Depth=1
	s_cvt_f32_u32 s2, s18
	s_cvt_f32_u32 s21, s19
	s_sub_nc_u64 s[24:25], 0, s[18:19]
	s_wait_alu 0xfffe
	s_delay_alu instid0(SALU_CYCLE_1) | instskip(SKIP_1) | instid1(SALU_CYCLE_2)
	s_fmamk_f32 s2, s21, 0x4f800000, s2
	s_wait_alu 0xfffe
	v_s_rcp_f32 s2, s2
	s_delay_alu instid0(TRANS32_DEP_1) | instskip(SKIP_1) | instid1(SALU_CYCLE_2)
	s_mul_f32 s2, s2, 0x5f7ffffc
	s_wait_alu 0xfffe
	s_mul_f32 s21, s2, 0x2f800000
	s_wait_alu 0xfffe
	s_delay_alu instid0(SALU_CYCLE_2) | instskip(SKIP_1) | instid1(SALU_CYCLE_2)
	s_trunc_f32 s21, s21
	s_wait_alu 0xfffe
	s_fmamk_f32 s2, s21, 0xcf800000, s2
	s_cvt_u32_f32 s23, s21
	s_wait_alu 0xfffe
	s_delay_alu instid0(SALU_CYCLE_1) | instskip(SKIP_1) | instid1(SALU_CYCLE_2)
	s_cvt_u32_f32 s22, s2
	s_wait_alu 0xfffe
	s_mul_u64 s[26:27], s[24:25], s[22:23]
	s_wait_alu 0xfffe
	s_mul_hi_u32 s29, s22, s27
	s_mul_i32 s28, s22, s27
	s_mul_hi_u32 s2, s22, s26
	s_mul_i32 s30, s23, s26
	s_wait_alu 0xfffe
	s_add_nc_u64 s[28:29], s[2:3], s[28:29]
	s_mul_hi_u32 s21, s23, s26
	s_mul_hi_u32 s31, s23, s27
	s_add_co_u32 s2, s28, s30
	s_wait_alu 0xfffe
	s_add_co_ci_u32 s2, s29, s21
	s_mul_i32 s26, s23, s27
	s_add_co_ci_u32 s27, s31, 0
	s_wait_alu 0xfffe
	s_add_nc_u64 s[26:27], s[2:3], s[26:27]
	s_wait_alu 0xfffe
	v_add_co_u32 v4, s2, s22, s26
	s_delay_alu instid0(VALU_DEP_1) | instskip(SKIP_1) | instid1(VALU_DEP_1)
	s_cmp_lg_u32 s2, 0
	s_add_co_ci_u32 s23, s23, s27
	v_readfirstlane_b32 s22, v4
	s_wait_alu 0xfffe
	s_delay_alu instid0(VALU_DEP_1)
	s_mul_u64 s[24:25], s[24:25], s[22:23]
	s_wait_alu 0xfffe
	s_mul_hi_u32 s27, s22, s25
	s_mul_i32 s26, s22, s25
	s_mul_hi_u32 s2, s22, s24
	s_mul_i32 s28, s23, s24
	s_wait_alu 0xfffe
	s_add_nc_u64 s[26:27], s[2:3], s[26:27]
	s_mul_hi_u32 s21, s23, s24
	s_mul_hi_u32 s22, s23, s25
	s_wait_alu 0xfffe
	s_add_co_u32 s2, s26, s28
	s_add_co_ci_u32 s2, s27, s21
	s_mul_i32 s24, s23, s25
	s_add_co_ci_u32 s25, s22, 0
	s_wait_alu 0xfffe
	s_add_nc_u64 s[24:25], s[2:3], s[24:25]
	s_wait_alu 0xfffe
	v_add_co_u32 v4, s2, v4, s24
	s_delay_alu instid0(VALU_DEP_1) | instskip(SKIP_1) | instid1(VALU_DEP_1)
	s_cmp_lg_u32 s2, 0
	s_add_co_ci_u32 s2, s23, s25
	v_mul_hi_u32 v13, v5, v4
	s_wait_alu 0xfffe
	v_mad_co_u64_u32 v[7:8], null, v5, s2, 0
	v_mad_co_u64_u32 v[9:10], null, v6, v4, 0
	;; [unrolled: 1-line block ×3, first 2 shown]
	s_delay_alu instid0(VALU_DEP_3) | instskip(SKIP_1) | instid1(VALU_DEP_4)
	v_add_co_u32 v4, vcc_lo, v13, v7
	s_wait_alu 0xfffd
	v_add_co_ci_u32_e32 v7, vcc_lo, 0, v8, vcc_lo
	s_delay_alu instid0(VALU_DEP_2) | instskip(SKIP_1) | instid1(VALU_DEP_2)
	v_add_co_u32 v4, vcc_lo, v4, v9
	s_wait_alu 0xfffd
	v_add_co_ci_u32_e32 v4, vcc_lo, v7, v10, vcc_lo
	s_wait_alu 0xfffd
	v_add_co_ci_u32_e32 v7, vcc_lo, 0, v12, vcc_lo
	s_delay_alu instid0(VALU_DEP_2) | instskip(SKIP_1) | instid1(VALU_DEP_2)
	v_add_co_u32 v4, vcc_lo, v4, v11
	s_wait_alu 0xfffd
	v_add_co_ci_u32_e32 v9, vcc_lo, 0, v7, vcc_lo
	s_delay_alu instid0(VALU_DEP_2) | instskip(SKIP_1) | instid1(VALU_DEP_3)
	v_mul_lo_u32 v10, s19, v4
	v_mad_co_u64_u32 v[7:8], null, s18, v4, 0
	v_mul_lo_u32 v11, s18, v9
	s_delay_alu instid0(VALU_DEP_2) | instskip(NEXT) | instid1(VALU_DEP_2)
	v_sub_co_u32 v7, vcc_lo, v5, v7
	v_add3_u32 v8, v8, v11, v10
	s_delay_alu instid0(VALU_DEP_1) | instskip(SKIP_1) | instid1(VALU_DEP_1)
	v_sub_nc_u32_e32 v10, v6, v8
	s_wait_alu 0xfffd
	v_subrev_co_ci_u32_e64 v10, s2, s19, v10, vcc_lo
	v_add_co_u32 v11, s2, v4, 2
	s_wait_alu 0xf1ff
	v_add_co_ci_u32_e64 v12, s2, 0, v9, s2
	v_sub_co_u32 v13, s2, v7, s18
	v_sub_co_ci_u32_e32 v8, vcc_lo, v6, v8, vcc_lo
	s_wait_alu 0xf1ff
	v_subrev_co_ci_u32_e64 v10, s2, 0, v10, s2
	s_delay_alu instid0(VALU_DEP_3) | instskip(NEXT) | instid1(VALU_DEP_3)
	v_cmp_le_u32_e32 vcc_lo, s18, v13
	v_cmp_eq_u32_e64 s2, s19, v8
	s_wait_alu 0xfffd
	v_cndmask_b32_e64 v13, 0, -1, vcc_lo
	v_cmp_le_u32_e32 vcc_lo, s19, v10
	s_wait_alu 0xfffd
	v_cndmask_b32_e64 v14, 0, -1, vcc_lo
	v_cmp_le_u32_e32 vcc_lo, s18, v7
	;; [unrolled: 3-line block ×3, first 2 shown]
	s_wait_alu 0xfffd
	v_cndmask_b32_e64 v15, 0, -1, vcc_lo
	v_cmp_eq_u32_e32 vcc_lo, s19, v10
	s_wait_alu 0xf1ff
	s_delay_alu instid0(VALU_DEP_2)
	v_cndmask_b32_e64 v7, v15, v7, s2
	s_wait_alu 0xfffd
	v_cndmask_b32_e32 v10, v14, v13, vcc_lo
	v_add_co_u32 v13, vcc_lo, v4, 1
	s_wait_alu 0xfffd
	v_add_co_ci_u32_e32 v14, vcc_lo, 0, v9, vcc_lo
	s_delay_alu instid0(VALU_DEP_3) | instskip(SKIP_2) | instid1(VALU_DEP_3)
	v_cmp_ne_u32_e32 vcc_lo, 0, v10
	s_wait_alu 0xfffd
	v_cndmask_b32_e32 v10, v13, v11, vcc_lo
	v_cndmask_b32_e32 v8, v14, v12, vcc_lo
	v_cmp_ne_u32_e32 vcc_lo, 0, v7
	s_wait_alu 0xfffd
	s_delay_alu instid0(VALU_DEP_2)
	v_dual_cndmask_b32 v7, v4, v10 :: v_dual_cndmask_b32 v8, v9, v8
.LBB0_4:                                ;   in Loop: Header=BB0_2 Depth=1
	s_wait_alu 0xfffe
	s_and_not1_saveexec_b32 s2, s20
	s_cbranch_execz .LBB0_6
; %bb.5:                                ;   in Loop: Header=BB0_2 Depth=1
	v_cvt_f32_u32_e32 v4, s18
	s_sub_co_i32 s20, 0, s18
	s_delay_alu instid0(VALU_DEP_1) | instskip(NEXT) | instid1(TRANS32_DEP_1)
	v_rcp_iflag_f32_e32 v4, v4
	v_mul_f32_e32 v4, 0x4f7ffffe, v4
	s_delay_alu instid0(VALU_DEP_1) | instskip(SKIP_1) | instid1(VALU_DEP_1)
	v_cvt_u32_f32_e32 v4, v4
	s_wait_alu 0xfffe
	v_mul_lo_u32 v7, s20, v4
	s_delay_alu instid0(VALU_DEP_1) | instskip(NEXT) | instid1(VALU_DEP_1)
	v_mul_hi_u32 v7, v4, v7
	v_add_nc_u32_e32 v4, v4, v7
	s_delay_alu instid0(VALU_DEP_1) | instskip(NEXT) | instid1(VALU_DEP_1)
	v_mul_hi_u32 v4, v5, v4
	v_mul_lo_u32 v7, v4, s18
	v_add_nc_u32_e32 v8, 1, v4
	s_delay_alu instid0(VALU_DEP_2) | instskip(NEXT) | instid1(VALU_DEP_1)
	v_sub_nc_u32_e32 v7, v5, v7
	v_subrev_nc_u32_e32 v9, s18, v7
	v_cmp_le_u32_e32 vcc_lo, s18, v7
	s_wait_alu 0xfffd
	s_delay_alu instid0(VALU_DEP_2) | instskip(NEXT) | instid1(VALU_DEP_1)
	v_dual_cndmask_b32 v7, v7, v9 :: v_dual_cndmask_b32 v4, v4, v8
	v_cmp_le_u32_e32 vcc_lo, s18, v7
	s_delay_alu instid0(VALU_DEP_2) | instskip(SKIP_1) | instid1(VALU_DEP_1)
	v_add_nc_u32_e32 v8, 1, v4
	s_wait_alu 0xfffd
	v_dual_cndmask_b32 v7, v4, v8 :: v_dual_mov_b32 v8, v3
.LBB0_6:                                ;   in Loop: Header=BB0_2 Depth=1
	s_wait_alu 0xfffe
	s_or_b32 exec_lo, exec_lo, s2
	s_load_b64 s[20:21], s[12:13], 0x0
	s_delay_alu instid0(VALU_DEP_1)
	v_mul_lo_u32 v4, v8, s18
	v_mul_lo_u32 v11, v7, s19
	v_mad_co_u64_u32 v[9:10], null, v7, s18, 0
	s_add_nc_u64 s[14:15], s[14:15], 1
	s_add_nc_u64 s[12:13], s[12:13], 8
	s_wait_alu 0xfffe
	v_cmp_ge_u64_e64 s2, s[14:15], s[6:7]
	s_add_nc_u64 s[16:17], s[16:17], 8
	s_delay_alu instid0(VALU_DEP_2) | instskip(NEXT) | instid1(VALU_DEP_3)
	v_add3_u32 v4, v10, v11, v4
	v_sub_co_u32 v5, vcc_lo, v5, v9
	s_wait_alu 0xfffd
	s_delay_alu instid0(VALU_DEP_2) | instskip(SKIP_3) | instid1(VALU_DEP_2)
	v_sub_co_ci_u32_e32 v4, vcc_lo, v6, v4, vcc_lo
	s_and_b32 vcc_lo, exec_lo, s2
	s_wait_kmcnt 0x0
	v_mul_lo_u32 v6, s21, v5
	v_mul_lo_u32 v4, s20, v4
	v_mad_co_u64_u32 v[1:2], null, s20, v5, v[1:2]
	s_delay_alu instid0(VALU_DEP_1)
	v_add3_u32 v2, v6, v2, v4
	s_wait_alu 0xfffe
	s_cbranch_vccnz .LBB0_9
; %bb.7:                                ;   in Loop: Header=BB0_2 Depth=1
	v_dual_mov_b32 v5, v7 :: v_dual_mov_b32 v6, v8
	s_branch .LBB0_2
.LBB0_8:
	v_dual_mov_b32 v8, v6 :: v_dual_mov_b32 v7, v5
.LBB0_9:
	s_lshl_b64 s[2:3], s[6:7], 3
	v_mul_hi_u32 v3, 0x2082083, v0
	s_wait_alu 0xfffe
	s_add_nc_u64 s[2:3], s[10:11], s[2:3]
	s_load_b64 s[0:1], s[0:1], 0x20
	s_load_b64 s[2:3], s[2:3], 0x0
	s_delay_alu instid0(VALU_DEP_1) | instskip(NEXT) | instid1(VALU_DEP_1)
	v_mul_u32_u24_e32 v3, 0x7e, v3
	v_sub_nc_u32_e32 v84, v0, v3
	s_delay_alu instid0(VALU_DEP_1)
	v_add_nc_u32_e32 v88, 0x7e, v84
	v_add_nc_u32_e32 v94, 0xfc, v84
	;; [unrolled: 1-line block ×4, first 2 shown]
	s_wait_kmcnt 0x0
	v_cmp_gt_u64_e32 vcc_lo, s[0:1], v[7:8]
	v_mul_lo_u32 v3, s2, v8
	v_mul_lo_u32 v4, s3, v7
	v_mad_co_u64_u32 v[0:1], null, s2, v7, v[1:2]
	v_cmp_le_u64_e64 s0, s[0:1], v[7:8]
	v_add_nc_u32_e32 v91, 0x276, v84
	v_add_nc_u32_e32 v90, 0x2f4, v84
	s_delay_alu instid0(VALU_DEP_4) | instskip(NEXT) | instid1(VALU_DEP_4)
	v_add3_u32 v1, v4, v1, v3
	s_and_saveexec_b32 s1, s0
	s_wait_alu 0xfffe
	s_xor_b32 s0, exec_lo, s1
; %bb.10:
	v_add_nc_u32_e32 v88, 0x7e, v84
	v_add_nc_u32_e32 v94, 0xfc, v84
	;; [unrolled: 1-line block ×6, first 2 shown]
; %bb.11:
	s_wait_alu 0xfffe
	s_or_saveexec_b32 s1, s0
	v_lshlrev_b64_e32 v[86:87], 4, v[0:1]
	s_wait_alu 0xfffe
	s_xor_b32 exec_lo, exec_lo, s1
	s_cbranch_execz .LBB0_13
; %bb.12:
	v_mov_b32_e32 v85, 0
	s_delay_alu instid0(VALU_DEP_2) | instskip(SKIP_2) | instid1(VALU_DEP_3)
	v_add_co_u32 v2, s0, s8, v86
	s_wait_alu 0xf1ff
	v_add_co_ci_u32_e64 v3, s0, s9, v87, s0
	v_lshlrev_b64_e32 v[0:1], 4, v[84:85]
	v_lshl_add_u32 v60, v84, 4, 0
	s_delay_alu instid0(VALU_DEP_2) | instskip(SKIP_1) | instid1(VALU_DEP_3)
	v_add_co_u32 v56, s0, v2, v0
	s_wait_alu 0xf1ff
	v_add_co_ci_u32_e64 v57, s0, v3, v1, s0
	s_clause 0xe
	global_load_b128 v[0:3], v[56:57], off
	global_load_b128 v[4:7], v[56:57], off offset:2016
	global_load_b128 v[8:11], v[56:57], off offset:4032
	;; [unrolled: 1-line block ×14, first 2 shown]
	s_wait_loadcnt 0xe
	ds_store_b128 v60, v[0:3]
	s_wait_loadcnt 0xd
	ds_store_b128 v60, v[4:7] offset:2016
	s_wait_loadcnt 0xc
	ds_store_b128 v60, v[8:11] offset:4032
	;; [unrolled: 2-line block ×14, first 2 shown]
.LBB0_13:
	s_or_b32 exec_lo, exec_lo, s1
	v_lshlrev_b32_e32 v85, 4, v84
	global_wb scope:SCOPE_SE
	s_wait_dscnt 0x0
	s_barrier_signal -1
	s_barrier_wait -1
	global_inv scope:SCOPE_SE
	v_add_nc_u32_e32 v96, 0, v85
	v_lshl_add_u32 v99, v88, 5, 0
	v_lshl_add_u32 v103, v94, 5, 0
	;; [unrolled: 1-line block ×4, first 2 shown]
	ds_load_b128 v[0:3], v96 offset:15120
	ds_load_b128 v[8:11], v96
	ds_load_b128 v[12:15], v96 offset:2016
	ds_load_b128 v[16:19], v96 offset:17136
	;; [unrolled: 1-line block ×14, first 2 shown]
	v_lshl_add_u32 v97, v91, 5, 0
	v_cmp_gt_u32_e64 s0, 63, v84
	global_wb scope:SCOPE_SE
	s_wait_dscnt 0x0
	s_barrier_signal -1
	s_barrier_wait -1
	v_add_f64_e64 v[64:65], v[8:9], -v[0:1]
	v_add_f64_e64 v[66:67], v[10:11], -v[2:3]
	v_add_f64_e64 v[16:17], v[12:13], -v[16:17]
	v_add_f64_e64 v[18:19], v[14:15], -v[18:19]
	v_add_f64_e64 v[20:21], v[24:25], -v[20:21]
	v_add_f64_e64 v[22:23], v[26:27], -v[22:23]
	v_add_f64_e64 v[32:33], v[28:29], -v[32:33]
	v_add_f64_e64 v[34:35], v[30:31], -v[34:35]
	v_add_f64_e64 v[36:37], v[40:41], -v[36:37]
	v_add_f64_e64 v[38:39], v[42:43], -v[38:39]
	v_add_f64_e64 v[48:49], v[44:45], -v[48:49]
	v_add_f64_e64 v[50:51], v[46:47], -v[50:51]
	v_add_f64_e64 v[52:53], v[56:57], -v[52:53]
	v_add_f64_e64 v[54:55], v[58:59], -v[54:55]
	v_add_f64_e64 v[0:1], v[4:5], -v[60:61]
	v_add_f64_e64 v[2:3], v[6:7], -v[62:63]
	global_inv scope:SCOPE_SE
	v_fma_f64 v[68:69], v[8:9], 2.0, -v[64:65]
	v_fma_f64 v[70:71], v[10:11], 2.0, -v[66:67]
	;; [unrolled: 1-line block ×14, first 2 shown]
	v_add_nc_u32_e32 v8, v96, v85
	v_lshl_add_u32 v13, v90, 5, 0
	ds_store_b128 v8, v[68:71]
	ds_store_b128 v8, v[64:67] offset:16
	ds_store_b128 v99, v[9:12]
	ds_store_b128 v99, v[16:19] offset:16
	;; [unrolled: 2-line block ×7, first 2 shown]
	s_and_saveexec_b32 s1, s0
	s_cbranch_execz .LBB0_15
; %bb.14:
	v_fma_f64 v[6:7], v[6:7], 2.0, -v[2:3]
	v_fma_f64 v[4:5], v[4:5], 2.0, -v[0:1]
	ds_store_b128 v8, v[4:7] offset:28224
	ds_store_b128 v8, v[0:3] offset:28240
.LBB0_15:
	s_wait_alu 0xfffe
	s_or_b32 exec_lo, exec_lo, s1
	v_and_b32_e32 v24, 1, v84
	global_wb scope:SCOPE_SE
	s_wait_dscnt 0x0
	s_barrier_signal -1
	s_barrier_wait -1
	global_inv scope:SCOPE_SE
	v_lshlrev_b32_e32 v4, 5, v24
	v_lshlrev_b32_e32 v89, 4, v91
	;; [unrolled: 1-line block ×5, first 2 shown]
	s_clause 0x1
	global_load_b128 v[30:33], v4, s[4:5]
	global_load_b128 v[34:37], v4, s[4:5] offset:16
	v_sub_nc_u32_e32 v29, v97, v89
	ds_load_b128 v[4:7], v29
	ds_load_b128 v[8:11], v96 offset:20160
	ds_load_b128 v[12:15], v96 offset:12096
	;; [unrolled: 1-line block ×7, first 2 shown]
	v_sub_nc_u32_e32 v28, v99, v101
	ds_load_b128 v[50:53], v96 offset:18144
	ds_load_b128 v[54:57], v96 offset:28224
	ds_load_b128 v[58:61], v96
	ds_load_b128 v[62:65], v28
	s_mov_b32 s2, 0xe8584caa
	s_mov_b32 s3, 0xbfebb67a
	;; [unrolled: 1-line block ×3, first 2 shown]
	s_wait_alu 0xfffe
	s_mov_b32 s6, s2
	v_lshrrev_b32_e32 v134, 1, v88
	v_lshrrev_b32_e32 v27, 1, v84
	;; [unrolled: 1-line block ×4, first 2 shown]
	v_cmp_gt_u32_e64 s1, 18, v84
	s_delay_alu instid0(VALU_DEP_4)
	v_mul_u32_u24_e32 v27, 6, v27
	s_wait_loadcnt_dscnt 0x10b
	v_mul_f64_e32 v[25:26], v[6:7], v[32:33]
	s_wait_loadcnt_dscnt 0xa
	v_mul_f64_e32 v[66:67], v[10:11], v[36:37]
	v_mul_f64_e32 v[68:69], v[4:5], v[32:33]
	v_mul_f64_e32 v[70:71], v[8:9], v[36:37]
	s_wait_dscnt 0x9
	v_mul_f64_e32 v[72:73], v[14:15], v[32:33]
	s_wait_dscnt 0x8
	v_mul_f64_e32 v[74:75], v[18:19], v[36:37]
	v_mul_f64_e32 v[76:77], v[12:13], v[32:33]
	v_mul_f64_e32 v[78:79], v[16:17], v[36:37]
	s_wait_dscnt 0x7
	v_mul_f64_e32 v[80:81], v[22:23], v[32:33]
	s_wait_dscnt 0x6
	;; [unrolled: 6-line block ×4, first 2 shown]
	v_mul_f64_e32 v[118:119], v[56:57], v[36:37]
	v_mul_f64_e32 v[32:33], v[50:51], v[32:33]
	;; [unrolled: 1-line block ×3, first 2 shown]
	v_fma_f64 v[25:26], v[4:5], v[30:31], v[25:26]
	v_fma_f64 v[4:5], v[8:9], v[34:35], v[66:67]
	v_fma_f64 v[66:67], v[6:7], v[30:31], -v[68:69]
	v_fma_f64 v[8:9], v[10:11], v[34:35], -v[70:71]
	v_fma_f64 v[68:69], v[12:13], v[30:31], v[72:73]
	v_fma_f64 v[6:7], v[16:17], v[34:35], v[74:75]
	v_fma_f64 v[70:71], v[14:15], v[30:31], -v[76:77]
	v_fma_f64 v[10:11], v[18:19], v[34:35], -v[78:79]
	v_fma_f64 v[72:73], v[20:21], v[30:31], v[80:81]
	v_fma_f64 v[12:13], v[38:39], v[34:35], v[82:83]
	v_fma_f64 v[74:75], v[22:23], v[30:31], -v[104:105]
	v_fma_f64 v[14:15], v[40:41], v[34:35], -v[106:107]
	v_fma_f64 v[76:77], v[42:43], v[30:31], v[108:109]
	v_fma_f64 v[16:17], v[46:47], v[34:35], v[110:111]
	v_fma_f64 v[45:46], v[44:45], v[30:31], -v[112:113]
	v_fma_f64 v[18:19], v[48:49], v[34:35], -v[114:115]
	v_fma_f64 v[47:48], v[50:51], v[30:31], v[116:117]
	v_fma_f64 v[20:21], v[54:55], v[34:35], v[118:119]
	v_fma_f64 v[49:50], v[52:53], v[30:31], -v[32:33]
	v_fma_f64 v[22:23], v[56:57], v[34:35], -v[36:37]
	v_lshlrev_b32_e32 v104, 4, v94
	v_sub_nc_u32_e32 v32, v100, v102
	v_sub_nc_u32_e32 v30, v98, v95
	v_and_b32_e32 v105, 0xff, v84
	s_delay_alu instid0(VALU_DEP_4)
	v_sub_nc_u32_e32 v31, v103, v104
	ds_load_b128 v[37:40], v32
	ds_load_b128 v[41:44], v30
	;; [unrolled: 1-line block ×3, first 2 shown]
	global_wb scope:SCOPE_SE
	s_wait_dscnt 0x0
	s_barrier_signal -1
	s_barrier_wait -1
	global_inv scope:SCOPE_SE
	v_add_f64_e32 v[114:115], v[58:59], v[25:26]
	v_add_f64_e32 v[51:52], v[25:26], v[4:5]
	;; [unrolled: 1-line block ×4, first 2 shown]
	v_add_f64_e64 v[66:67], v[66:67], -v[8:9]
	v_add_f64_e32 v[55:56], v[68:69], v[6:7]
	v_add_f64_e64 v[25:26], v[25:26], -v[4:5]
	v_add_f64_e32 v[78:79], v[70:71], v[10:11]
	v_add_f64_e32 v[118:119], v[62:63], v[68:69]
	;; [unrolled: 1-line block ×13, first 2 shown]
	v_add_f64_e64 v[76:77], v[76:77], -v[16:17]
	v_add_f64_e32 v[130:131], v[43:44], v[49:50]
	v_add_f64_e32 v[132:133], v[41:42], v[47:48]
	v_fma_f64 v[51:52], v[51:52], -0.5, v[58:59]
	v_add_f64_e64 v[57:58], v[70:71], -v[10:11]
	v_fma_f64 v[53:54], v[53:54], -0.5, v[60:61]
	v_add_f64_e64 v[59:60], v[68:69], -v[6:7]
	;; [unrolled: 2-line block ×6, first 2 shown]
	v_fma_f64 v[74:75], v[106:107], -0.5, v[37:38]
	v_add_f64_e32 v[6:7], v[118:119], v[6:7]
	v_fma_f64 v[78:79], v[108:109], -0.5, v[39:40]
	v_add_f64_e64 v[107:108], v[47:48], -v[20:21]
	v_fma_f64 v[82:83], v[110:111], -0.5, v[41:42]
	v_add_f64_e32 v[40:41], v[116:117], v[8:9]
	v_fma_f64 v[109:110], v[112:113], -0.5, v[43:44]
	v_add_f64_e32 v[38:39], v[114:115], v[4:5]
	v_add_f64_e32 v[8:9], v[120:121], v[10:11]
	;; [unrolled: 1-line block ×4, first 2 shown]
	v_lshrrev_b32_e32 v37, 1, v92
	v_mul_lo_u16 v113, 0xab, v105
	v_add_f64_e32 v[14:15], v[126:127], v[16:17]
	v_add_f64_e32 v[16:17], v[128:129], v[18:19]
	;; [unrolled: 1-line block ×4, first 2 shown]
	v_mul_lo_u32 v5, v37, 6
	v_lshrrev_b16 v37, 10, v113
	v_mul_lo_u32 v111, v134, 6
	v_mul_lo_u32 v112, v135, 6
	;; [unrolled: 1-line block ×3, first 2 shown]
	v_and_b32_e32 v106, 0xff, v88
	v_and_b32_e32 v34, 0xffff, v94
	;; [unrolled: 1-line block ×3, first 2 shown]
	v_or_b32_e32 v5, v5, v24
	v_fma_f64 v[42:43], v[66:67], s[2:3], v[51:52]
	s_wait_alu 0xfffe
	v_fma_f64 v[46:47], v[66:67], s[6:7], v[51:52]
	v_fma_f64 v[44:45], v[25:26], s[6:7], v[53:54]
	;; [unrolled: 1-line block ×19, first 2 shown]
	v_mul_lo_u16 v26, v37, 6
	v_or_b32_e32 v25, v27, v24
	v_or_b32_e32 v27, v111, v24
	;; [unrolled: 1-line block ×4, first 2 shown]
	v_sub_nc_u16 v26, v84, v26
	v_lshl_add_u32 v24, v25, 4, 0
	v_lshl_add_u32 v25, v27, 4, 0
	v_mul_lo_u16 v18, 0xab, v106
	v_lshl_add_u32 v4, v4, 4, 0
	v_and_b32_e32 v36, 0xff, v26
	v_lshl_add_u32 v26, v35, 4, 0
	v_lshl_add_u32 v5, v5, 4, 0
	v_mul_u32_u24_e32 v19, 0xaaab, v34
	v_and_b32_e32 v35, 0xffff, v92
	v_lshlrev_b32_e32 v27, 5, v36
	v_and_b32_e32 v37, 0xffff, v37
	ds_store_b128 v24, v[38:41]
	ds_store_b128 v24, v[42:45] offset:32
	ds_store_b128 v24, v[46:49] offset:64
	ds_store_b128 v25, v[6:9]
	ds_store_b128 v25, v[50:53] offset:32
	ds_store_b128 v25, v[54:57] offset:64
	;; [unrolled: 3-line block ×5, first 2 shown]
	global_wb scope:SCOPE_SE
	s_wait_dscnt 0x0
	s_barrier_signal -1
	s_barrier_wait -1
	global_inv scope:SCOPE_SE
	s_clause 0x1
	global_load_b128 v[8:11], v27, s[4:5] offset:64
	global_load_b128 v[12:15], v27, s[4:5] offset:80
	v_lshrrev_b16 v38, 10, v18
	v_mul_u32_u24_e32 v4, 0xaaab, v33
	v_lshrrev_b32_e32 v39, 18, v19
	v_mul_u32_u24_e32 v6, 0xaaab, v35
	s_delay_alu instid0(VALU_DEP_4) | instskip(NEXT) | instid1(VALU_DEP_4)
	v_mul_lo_u16 v5, v38, 6
	v_lshrrev_b32_e32 v41, 18, v4
	s_delay_alu instid0(VALU_DEP_4) | instskip(NEXT) | instid1(VALU_DEP_4)
	v_mul_lo_u16 v4, v39, 6
	v_lshrrev_b32_e32 v43, 18, v6
	s_delay_alu instid0(VALU_DEP_4) | instskip(NEXT) | instid1(VALU_DEP_4)
	v_sub_nc_u16 v5, v88, v5
	v_mul_lo_u16 v6, v41, 6
	s_delay_alu instid0(VALU_DEP_4) | instskip(NEXT) | instid1(VALU_DEP_3)
	v_sub_nc_u16 v4, v94, v4
	v_and_b32_e32 v40, 0xff, v5
	v_mul_lo_u16 v5, v43, 6
	s_delay_alu instid0(VALU_DEP_4) | instskip(NEXT) | instid1(VALU_DEP_4)
	v_sub_nc_u16 v6, v93, v6
	v_and_b32_e32 v42, 0xffff, v4
	s_delay_alu instid0(VALU_DEP_4) | instskip(NEXT) | instid1(VALU_DEP_4)
	v_lshlrev_b32_e32 v4, 5, v40
	v_sub_nc_u16 v5, v92, v5
	s_delay_alu instid0(VALU_DEP_4) | instskip(NEXT) | instid1(VALU_DEP_4)
	v_and_b32_e32 v44, 0xffff, v6
	v_lshlrev_b32_e32 v6, 5, v42
	s_clause 0x1
	global_load_b128 v[16:19], v4, s[4:5] offset:64
	global_load_b128 v[20:23], v4, s[4:5] offset:80
	v_and_b32_e32 v45, 0xffff, v5
	v_lshlrev_b32_e32 v4, 5, v44
	s_clause 0x2
	global_load_b128 v[24:27], v6, s[4:5] offset:64
	global_load_b128 v[46:49], v6, s[4:5] offset:80
	;; [unrolled: 1-line block ×3, first 2 shown]
	v_lshlrev_b32_e32 v5, 5, v45
	s_clause 0x2
	global_load_b128 v[54:57], v4, s[4:5] offset:80
	global_load_b128 v[58:61], v5, s[4:5] offset:64
	;; [unrolled: 1-line block ×3, first 2 shown]
	ds_load_b128 v[66:69], v29
	ds_load_b128 v[4:7], v28
	ds_load_b128 v[70:73], v96 offset:20160
	ds_load_b128 v[74:77], v96 offset:12096
	;; [unrolled: 1-line block ×9, first 2 shown]
	ds_load_b128 v[131:134], v96
	s_wait_loadcnt_dscnt 0x90b
	v_mul_f64_e32 v[82:83], v[68:69], v[10:11]
	v_mul_f64_e32 v[10:11], v[66:67], v[10:11]
	s_wait_loadcnt_dscnt 0x809
	v_mul_f64_e32 v[135:136], v[72:73], v[14:15]
	v_mul_f64_e32 v[14:15], v[70:71], v[14:15]
	;; [unrolled: 3-line block ×8, first 2 shown]
	v_fma_f64 v[66:67], v[66:67], v[8:9], v[82:83]
	s_wait_loadcnt_dscnt 0x102
	v_mul_f64_e32 v[82:83], v[125:126], v[60:61]
	s_wait_loadcnt_dscnt 0x1
	v_mul_f64_e32 v[149:150], v[129:130], v[64:65]
	v_mul_f64_e32 v[60:61], v[123:124], v[60:61]
	v_mul_f64_e32 v[64:65], v[127:128], v[64:65]
	v_fma_f64 v[68:69], v[68:69], v[8:9], -v[10:11]
	v_fma_f64 v[8:9], v[70:71], v[12:13], v[135:136]
	v_fma_f64 v[10:11], v[72:73], v[12:13], -v[14:15]
	v_fma_f64 v[70:71], v[74:75], v[16:17], v[137:138]
	;; [unrolled: 2-line block ×7, first 2 shown]
	v_fma_f64 v[24:25], v[121:122], v[54:55], -v[56:57]
	ds_load_b128 v[46:49], v31
	ds_load_b128 v[50:53], v32
	v_fma_f64 v[82:83], v[123:124], v[58:59], v[82:83]
	v_fma_f64 v[22:23], v[127:128], v[62:63], v[149:150]
	v_fma_f64 v[58:59], v[125:126], v[58:59], -v[60:61]
	v_fma_f64 v[26:27], v[129:130], v[62:63], -v[64:65]
	ds_load_b128 v[54:57], v30
	v_add_f64_e32 v[60:61], v[66:67], v[8:9]
	v_add_f64_e32 v[62:63], v[68:69], v[10:11]
	s_wait_dscnt 0x3
	v_add_f64_e32 v[121:122], v[133:134], v[68:69]
	v_add_f64_e32 v[123:124], v[131:132], v[66:67]
	v_add_f64_e64 v[68:69], v[68:69], -v[10:11]
	v_add_f64_e64 v[66:67], v[66:67], -v[8:9]
	v_mul_lo_u16 v147, v105, 57
	global_wb scope:SCOPE_SE
	s_wait_dscnt 0x0
	s_barrier_signal -1
	s_barrier_wait -1
	global_inv scope:SCOPE_SE
	v_add_f64_e32 v[127:128], v[4:5], v[70:71]
	v_add_f64_e32 v[125:126], v[6:7], v[72:73]
	;; [unrolled: 1-line block ×4, first 2 shown]
	v_add_f64_e64 v[72:73], v[72:73], -v[14:15]
	v_add_f64_e64 v[70:71], v[70:71], -v[12:13]
	v_add_f64_e32 v[109:110], v[74:75], v[16:17]
	v_add_f64_e32 v[111:112], v[76:77], v[20:21]
	;; [unrolled: 1-line block ×6, first 2 shown]
	v_add_f64_e64 v[76:77], v[76:77], -v[20:21]
	v_add_f64_e64 v[74:75], v[74:75], -v[16:17]
	v_add_f64_e32 v[117:118], v[82:83], v[22:23]
	v_add_f64_e32 v[137:138], v[52:53], v[80:81]
	;; [unrolled: 1-line block ×4, first 2 shown]
	v_fma_f64 v[60:61], v[60:61], -0.5, v[131:132]
	v_fma_f64 v[62:63], v[62:63], -0.5, v[133:134]
	v_add_f64_e64 v[80:81], v[80:81], -v[24:25]
	v_add_f64_e64 v[131:132], v[78:79], -v[18:19]
	v_add_f64_e32 v[141:142], v[56:57], v[58:59]
	v_add_f64_e32 v[143:144], v[54:55], v[82:83]
	v_add_f64_e64 v[133:134], v[58:59], -v[26:27]
	v_add_f64_e64 v[145:146], v[82:83], -v[22:23]
	v_mul_u32_u24_e32 v83, 0xe38f, v34
	v_add_f64_e32 v[12:13], v[127:128], v[12:13]
	v_add_f64_e32 v[14:15], v[125:126], v[14:15]
	v_fma_f64 v[64:65], v[64:65], -0.5, v[4:5]
	v_fma_f64 v[107:108], v[107:108], -0.5, v[6:7]
	v_mul_lo_u16 v4, v106, 57
	v_add_f64_e32 v[6:7], v[121:122], v[10:11]
	v_fma_f64 v[109:110], v[109:110], -0.5, v[46:47]
	v_fma_f64 v[111:112], v[111:112], -0.5, v[48:49]
	v_lshrrev_b16 v46, 10, v147
	v_lshrrev_b16 v34, 10, v4
	v_fma_f64 v[113:114], v[113:114], -0.5, v[50:51]
	v_fma_f64 v[115:116], v[115:116], -0.5, v[52:53]
	v_add_f64_e32 v[4:5], v[123:124], v[8:9]
	v_add_f64_e32 v[49:50], v[129:130], v[20:21]
	v_fma_f64 v[117:118], v[117:118], -0.5, v[54:55]
	v_add_f64_e32 v[47:48], v[135:136], v[16:17]
	v_fma_f64 v[119:120], v[119:120], -0.5, v[56:57]
	v_add_f64_e32 v[20:21], v[137:138], v[24:25]
	v_fma_f64 v[51:52], v[68:69], s[2:3], v[60:61]
	v_fma_f64 v[53:54], v[66:67], s[6:7], v[62:63]
	;; [unrolled: 1-line block ×4, first 2 shown]
	v_add_f64_e32 v[18:19], v[139:140], v[18:19]
	v_add_f64_e32 v[24:25], v[141:142], v[26:27]
	;; [unrolled: 1-line block ×3, first 2 shown]
	v_mul_lo_u16 v147, v46, 18
	v_and_b32_e32 v8, 0xffff, v38
	v_mul_u32_u24_e32 v17, 0x120, v37
	v_lshlrev_b32_e32 v27, 4, v40
	v_mul_u32_u24_e32 v9, 0x120, v39
	v_sub_nc_u16 v10, v84, v147
	v_mul_u32_u24_e32 v26, 0x120, v8
	v_mul_u32_u24_e32 v11, 0x120, v41
	;; [unrolled: 1-line block ×3, first 2 shown]
	v_lshlrev_b32_e32 v37, 4, v44
	v_and_b32_e32 v8, 0xff, v10
	v_lshlrev_b32_e32 v10, 4, v36
	v_lshlrev_b32_e32 v36, 4, v42
	;; [unrolled: 1-line block ×3, first 2 shown]
	v_add3_u32 v11, 0, v11, v37
	v_fma_f64 v[59:60], v[72:73], s[2:3], v[64:65]
	v_fma_f64 v[61:62], v[70:71], s[6:7], v[107:108]
	;; [unrolled: 1-line block ×16, first 2 shown]
	v_lshlrev_b32_e32 v39, 5, v8
	v_add3_u32 v10, 0, v17, v10
	v_add3_u32 v17, 0, v26, v27
	;; [unrolled: 1-line block ×4, first 2 shown]
	v_lshrrev_b32_e32 v27, 20, v83
	v_lshlrev_b32_e32 v8, 4, v8
	ds_store_b128 v10, v[4:7]
	ds_store_b128 v10, v[51:54] offset:96
	ds_store_b128 v10, v[55:58] offset:192
	ds_store_b128 v17, v[12:15]
	ds_store_b128 v17, v[59:62] offset:96
	ds_store_b128 v17, v[63:66] offset:192
	;; [unrolled: 3-line block ×5, first 2 shown]
	global_wb scope:SCOPE_SE
	s_wait_dscnt 0x0
	s_barrier_signal -1
	s_barrier_wait -1
	global_inv scope:SCOPE_SE
	global_load_b128 v[4:7], v39, s[4:5] offset:256
	v_mul_u32_u24_e32 v9, 0xe38f, v33
	v_mul_lo_u16 v10, v34, 18
	v_mul_u32_u24_e32 v11, 0xe38f, v35
	s_delay_alu instid0(VALU_DEP_3) | instskip(SKIP_1) | instid1(VALU_DEP_4)
	v_lshrrev_b32_e32 v33, 20, v9
	v_mul_lo_u16 v9, v27, 18
	v_sub_nc_u16 v10, v88, v10
	s_delay_alu instid0(VALU_DEP_4)
	v_lshrrev_b32_e32 v45, 20, v11
	v_mul_u32_u24_e32 v27, 0x360, v27
	v_mul_lo_u16 v11, v33, 18
	v_sub_nc_u16 v9, v94, v9
	v_and_b32_e32 v83, 0xff, v10
	v_mul_lo_u16 v10, v45, 18
	v_mul_u32_u24_e32 v33, 0x360, v33
	v_sub_nc_u16 v11, v93, v11
	v_and_b32_e32 v147, 0xffff, v9
	v_lshlrev_b32_e32 v17, 5, v83
	v_sub_nc_u16 v18, v92, v10
	s_delay_alu instid0(VALU_DEP_4)
	v_and_b32_e32 v148, 0xffff, v11
	global_load_b128 v[9:12], v39, s[4:5] offset:272
	v_lshlrev_b32_e32 v25, 5, v147
	global_load_b128 v[13:16], v17, s[4:5] offset:256
	v_and_b32_e32 v149, 0xffff, v18
	global_load_b128 v[17:20], v17, s[4:5] offset:272
	v_lshlrev_b32_e32 v26, 5, v148
	s_clause 0x1
	global_load_b128 v[21:24], v25, s[4:5] offset:256
	global_load_b128 v[35:38], v25, s[4:5] offset:272
	v_lshlrev_b32_e32 v25, 5, v149
	s_clause 0x3
	global_load_b128 v[39:42], v26, s[4:5] offset:256
	global_load_b128 v[47:50], v26, s[4:5] offset:272
	;; [unrolled: 1-line block ×4, first 2 shown]
	ds_load_b128 v[59:62], v29
	ds_load_b128 v[63:66], v28
	ds_load_b128 v[67:70], v96 offset:20160
	ds_load_b128 v[71:74], v96 offset:12096
	;; [unrolled: 1-line block ×9, first 2 shown]
	ds_load_b128 v[127:130], v96
	s_wait_loadcnt_dscnt 0x90b
	v_mul_f64_e32 v[25:26], v[61:62], v[6:7]
	v_mul_f64_e32 v[6:7], v[59:60], v[6:7]
	s_wait_loadcnt_dscnt 0x809
	v_mul_f64_e32 v[43:44], v[69:70], v[11:12]
	v_mul_f64_e32 v[11:12], v[67:68], v[11:12]
	;; [unrolled: 3-line block ×8, first 2 shown]
	s_wait_loadcnt_dscnt 0x102
	v_mul_f64_e32 v[143:144], v[121:122], v[53:54]
	s_wait_loadcnt_dscnt 0x1
	v_mul_f64_e32 v[145:146], v[125:126], v[57:58]
	v_fma_f64 v[25:26], v[59:60], v[4:5], v[25:26]
	v_fma_f64 v[59:60], v[61:62], v[4:5], -v[6:7]
	v_mul_f64_e32 v[4:5], v[119:120], v[53:54]
	v_mul_f64_e32 v[6:7], v[123:124], v[57:58]
	v_fma_f64 v[43:44], v[67:68], v[9:10], v[43:44]
	v_fma_f64 v[53:54], v[69:70], v[9:10], -v[11:12]
	v_fma_f64 v[57:58], v[71:72], v[13:14], v[131:132]
	v_fma_f64 v[61:62], v[73:74], v[13:14], -v[15:16]
	;; [unrolled: 2-line block ×7, first 2 shown]
	v_fma_f64 v[47:48], v[119:120], v[51:52], v[143:144]
	v_fma_f64 v[49:50], v[123:124], v[55:56], v[145:146]
	s_wait_dscnt 0x0
	v_add_f64_e32 v[111:112], v[127:128], v[25:26]
	v_add_f64_e32 v[113:114], v[129:130], v[59:60]
	v_fma_f64 v[51:52], v[121:122], v[51:52], -v[4:5]
	v_fma_f64 v[55:56], v[125:126], v[55:56], -v[6:7]
	ds_load_b128 v[4:7], v31
	ds_load_b128 v[9:12], v32
	;; [unrolled: 1-line block ×3, first 2 shown]
	global_wb scope:SCOPE_SE
	s_wait_dscnt 0x0
	s_barrier_signal -1
	s_barrier_wait -1
	global_inv scope:SCOPE_SE
	v_add_f64_e32 v[71:72], v[25:26], v[43:44]
	v_add_f64_e32 v[73:74], v[59:60], v[53:54]
	v_add_f64_e64 v[59:60], v[59:60], -v[53:54]
	v_add_f64_e64 v[25:26], v[25:26], -v[43:44]
	v_add_f64_e32 v[75:76], v[57:58], v[67:68]
	v_add_f64_e32 v[77:78], v[61:62], v[17:18]
	;; [unrolled: 1-line block ×13, first 2 shown]
	v_add_f64_e64 v[61:62], v[61:62], -v[17:18]
	v_add_f64_e64 v[57:58], v[57:58], -v[67:68]
	v_add_f64_e32 v[109:110], v[51:52], v[55:56]
	v_add_f64_e32 v[131:132], v[15:16], v[51:52]
	;; [unrolled: 1-line block ×3, first 2 shown]
	v_add_f64_e64 v[137:138], v[47:48], -v[49:50]
	v_fma_f64 v[71:72], v[71:72], -0.5, v[127:128]
	v_fma_f64 v[73:74], v[73:74], -0.5, v[129:130]
	v_add_f64_e64 v[129:130], v[51:52], -v[55:56]
	v_fma_f64 v[63:64], v[75:76], -0.5, v[63:64]
	v_fma_f64 v[65:66], v[77:78], -0.5, v[65:66]
	v_add_f64_e64 v[75:76], v[21:22], -v[35:36]
	v_add_f64_e64 v[77:78], v[19:20], -v[23:24]
	v_fma_f64 v[4:5], v[79:80], -0.5, v[4:5]
	v_fma_f64 v[6:7], v[81:82], -0.5, v[6:7]
	v_add_f64_e64 v[79:80], v[39:40], -v[41:42]
	v_add_f64_e32 v[19:20], v[119:120], v[35:36]
	v_fma_f64 v[81:82], v[107:108], -0.5, v[9:10]
	v_add_f64_e64 v[107:108], v[37:38], -v[69:70]
	v_fma_f64 v[127:128], v[31:32], -0.5, v[11:12]
	v_fma_f64 v[135:136], v[29:30], -0.5, v[13:14]
	v_add_f64_e32 v[11:12], v[113:114], v[53:54]
	v_add_f64_e32 v[9:10], v[111:112], v[43:44]
	;; [unrolled: 1-line block ×3, first 2 shown]
	v_fma_f64 v[109:110], v[109:110], -0.5, v[15:16]
	v_add_f64_e32 v[15:16], v[117:118], v[17:18]
	v_add_f64_e32 v[17:18], v[121:122], v[23:24]
	;; [unrolled: 1-line block ×6, first 2 shown]
	v_lshlrev_b32_e32 v43, 4, v83
	v_lshlrev_b32_e32 v44, 4, v147
	v_fma_f64 v[35:36], v[59:60], s[2:3], v[71:72]
	v_fma_f64 v[37:38], v[25:26], s[6:7], v[73:74]
	;; [unrolled: 1-line block ×18, first 2 shown]
	v_and_b32_e32 v25, 0xffff, v46
	v_fma_f64 v[73:74], v[137:138], s[6:7], v[109:110]
	v_fma_f64 v[6:7], v[137:138], s[2:3], v[109:110]
	v_and_b32_e32 v26, 0xffff, v34
	v_mul_u32_u24_e32 v34, 0x360, v45
	v_mul_u32_u24_e32 v25, 0x360, v25
	v_lshlrev_b32_e32 v45, 4, v148
	v_lshlrev_b32_e32 v46, 4, v149
	v_mul_u32_u24_e32 v26, 0x360, v26
	s_delay_alu instid0(VALU_DEP_4) | instskip(NEXT) | instid1(VALU_DEP_2)
	v_add3_u32 v8, 0, v25, v8
	v_add3_u32 v25, 0, v26, v43
	;; [unrolled: 1-line block ×5, first 2 shown]
	ds_store_b128 v8, v[9:12]
	ds_store_b128 v8, v[35:38] offset:288
	ds_store_b128 v8, v[39:42] offset:576
	ds_store_b128 v25, v[13:16]
	ds_store_b128 v25, v[47:50] offset:288
	ds_store_b128 v25, v[51:54] offset:576
	;; [unrolled: 3-line block ×5, first 2 shown]
	global_wb scope:SCOPE_SE
	s_wait_dscnt 0x0
	s_barrier_signal -1
	s_barrier_wait -1
	global_inv scope:SCOPE_SE
	ds_load_b128 v[32:35], v96
	ds_load_b128 v[72:75], v96 offset:4320
	ds_load_b128 v[64:67], v96 offset:8640
	ds_load_b128 v[52:55], v96 offset:6336
	ds_load_b128 v[44:47], v96 offset:12960
	ds_load_b128 v[56:59], v96 offset:10656
	ds_load_b128 v[48:51], v96 offset:17280
	ds_load_b128 v[36:39], v96 offset:14976
	ds_load_b128 v[76:79], v96 offset:21600
	ds_load_b128 v[40:43], v96 offset:19296
	ds_load_b128 v[80:83], v96 offset:25920
	ds_load_b128 v[60:63], v96 offset:23616
	ds_load_b128 v[28:31], v28
	ds_load_b128 v[68:71], v96 offset:27936
	v_sub_nc_u32_e32 v8, 0, v104
                                        ; implicit-def: $vgpr26_vgpr27
                                        ; implicit-def: $vgpr22_vgpr23
                                        ; implicit-def: $vgpr18_vgpr19
                                        ; implicit-def: $vgpr14_vgpr15
                                        ; implicit-def: $vgpr10_vgpr11
	s_delay_alu instid0(VALU_DEP_1)
	v_add_nc_u32_e32 v103, v103, v8
	s_and_saveexec_b32 s2, s1
	s_cbranch_execz .LBB0_17
; %bb.16:
	ds_load_b128 v[4:7], v103
	ds_load_b128 v[0:3], v96 offset:8352
	ds_load_b128 v[8:11], v96 offset:12672
	;; [unrolled: 1-line block ×6, first 2 shown]
.LBB0_17:
	s_wait_alu 0xfffe
	s_or_b32 exec_lo, exec_lo, s2
	v_mul_lo_u16 v104, v105, 19
	v_mul_lo_u16 v106, v106, 19
	s_mov_b32 s10, 0x37e14327
	s_mov_b32 s14, 0xe976ee23
	;; [unrolled: 1-line block ×3, first 2 shown]
	v_lshrrev_b16 v104, 10, v104
	v_lshrrev_b16 v106, 10, v106
	s_mov_b32 s15, 0x3fe11646
	s_mov_b32 s2, 0x429ad128
	;; [unrolled: 1-line block ×3, first 2 shown]
	v_mul_lo_u16 v105, v104, 54
	v_mul_lo_u16 v107, v106, 54
	s_mov_b32 s3, 0xbfebfeb5
	s_mov_b32 s7, 0x3fac98ee
	;; [unrolled: 1-line block ×3, first 2 shown]
	v_sub_nc_u16 v105, v84, v105
	v_sub_nc_u16 v107, v88, v107
	s_mov_b32 s20, 0xb247c609
	s_mov_b32 s13, 0xbff2aaaa
	;; [unrolled: 1-line block ×3, first 2 shown]
	v_and_b32_e32 v105, 0xff, v105
	v_and_b32_e32 v107, 0xff, v107
	s_mov_b32 s21, 0xbfd5d0dc
	s_mov_b32 s17, 0x3fe77f67
	;; [unrolled: 1-line block ×3, first 2 shown]
	v_mul_u32_u24_e32 v108, 6, v105
	v_mul_u32_u24_e32 v124, 6, v107
	s_mov_b32 s23, 0x3fd5d0dc
	s_mov_b32 s18, s16
	s_wait_alu 0xfffe
	s_mov_b32 s22, s20
	v_lshlrev_b32_e32 v144, 4, v108
	v_lshlrev_b32_e32 v152, 4, v124
	s_mov_b32 s24, 0x37c3f68c
	s_mov_b32 s25, 0xbfdc38aa
	s_clause 0xb
	global_load_b128 v[108:111], v144, s[4:5] offset:832
	global_load_b128 v[112:115], v144, s[4:5] offset:848
	;; [unrolled: 1-line block ×12, first 2 shown]
	global_wb scope:SCOPE_SE
	s_wait_loadcnt_dscnt 0x0
	s_barrier_signal -1
	s_barrier_wait -1
	global_inv scope:SCOPE_SE
	v_mul_f64_e32 v[164:165], v[54:55], v[126:127]
	v_mul_f64_e32 v[126:127], v[52:53], v[126:127]
	;; [unrolled: 1-line block ×20, first 2 shown]
	v_fma_f64 v[52:53], v[52:53], v[124:125], v[164:165]
	v_fma_f64 v[54:55], v[54:55], v[124:125], -v[126:127]
	v_fma_f64 v[56:57], v[56:57], v[128:129], v[166:167]
	v_fma_f64 v[58:59], v[58:59], v[128:129], -v[130:131]
	v_fma_f64 v[64:65], v[64:65], v[112:113], v[158:159]
	v_fma_f64 v[72:73], v[72:73], v[108:109], v[156:157]
	v_fma_f64 v[74:75], v[74:75], v[108:109], -v[110:111]
	v_fma_f64 v[66:67], v[66:67], v[112:113], -v[114:115]
	v_fma_f64 v[80:81], v[80:81], v[116:117], v[160:161]
	v_fma_f64 v[82:83], v[82:83], v[116:117], -v[118:119]
	v_fma_f64 v[76:77], v[76:77], v[120:121], v[162:163]
	v_fma_f64 v[78:79], v[78:79], v[120:121], -v[122:123]
	v_mul_f64_e32 v[108:109], v[38:39], v[150:151]
	v_mul_f64_e32 v[110:111], v[36:37], v[150:151]
	;; [unrolled: 1-line block ×4, first 2 shown]
	v_fma_f64 v[68:69], v[68:69], v[132:133], v[168:169]
	v_fma_f64 v[70:71], v[70:71], v[132:133], -v[134:135]
	v_fma_f64 v[60:61], v[60:61], v[136:137], v[170:171]
	v_fma_f64 v[62:63], v[62:63], v[136:137], -v[138:139]
	;; [unrolled: 2-line block ×4, first 2 shown]
	v_add_f64_e32 v[116:117], v[72:73], v[80:81]
	v_add_f64_e32 v[118:119], v[74:75], v[82:83]
	;; [unrolled: 1-line block ×4, first 2 shown]
	v_fma_f64 v[36:37], v[36:37], v[148:149], v[108:109]
	v_fma_f64 v[38:39], v[38:39], v[148:149], -v[110:111]
	v_fma_f64 v[40:41], v[40:41], v[152:153], v[112:113]
	v_fma_f64 v[42:43], v[42:43], v[152:153], -v[114:115]
	v_add_f64_e32 v[108:109], v[52:53], v[68:69]
	v_add_f64_e32 v[110:111], v[54:55], v[70:71]
	;; [unrolled: 1-line block ×4, first 2 shown]
	v_add_f64_e64 v[64:65], v[64:65], -v[76:77]
	v_add_f64_e64 v[66:67], v[66:67], -v[78:79]
	v_add_f64_e32 v[124:125], v[44:45], v[48:49]
	v_add_f64_e32 v[126:127], v[46:47], v[50:51]
	v_add_f64_e64 v[44:45], v[48:49], -v[44:45]
	v_add_f64_e64 v[46:47], v[50:51], -v[46:47]
	;; [unrolled: 1-line block ×6, first 2 shown]
	v_add_f64_e32 v[72:73], v[120:121], v[116:117]
	v_add_f64_e32 v[74:75], v[122:123], v[118:119]
	;; [unrolled: 1-line block ×4, first 2 shown]
	v_add_f64_e64 v[36:37], v[40:41], -v[36:37]
	v_add_f64_e64 v[38:39], v[42:43], -v[38:39]
	;; [unrolled: 1-line block ×4, first 2 shown]
	v_add_f64_e32 v[52:53], v[112:113], v[108:109]
	v_add_f64_e32 v[54:55], v[114:115], v[110:111]
	v_add_f64_e64 v[68:69], v[116:117], -v[124:125]
	v_add_f64_e64 v[70:71], v[118:119], -v[126:127]
	;; [unrolled: 1-line block ×8, first 2 shown]
	v_add_f64_e32 v[64:65], v[44:45], v[64:65]
	v_add_f64_e32 v[66:67], v[46:47], v[66:67]
	v_add_f64_e64 v[44:45], v[48:49], -v[44:45]
	v_add_f64_e64 v[46:47], v[50:51], -v[46:47]
	v_add_f64_e64 v[116:117], v[120:121], -v[116:117]
	v_add_f64_e64 v[118:119], v[122:123], -v[118:119]
	v_add_f64_e32 v[72:73], v[124:125], v[72:73]
	v_add_f64_e32 v[74:75], v[126:127], v[74:75]
	v_add_f64_e64 v[124:125], v[108:109], -v[60:61]
	v_add_f64_e64 v[126:127], v[110:111], -v[62:63]
	;; [unrolled: 1-line block ×6, first 2 shown]
	v_add_f64_e32 v[52:53], v[60:61], v[52:53]
	v_add_f64_e32 v[54:55], v[62:63], v[54:55]
	v_add_f64_e64 v[60:61], v[60:61], -v[112:113]
	v_add_f64_e64 v[62:63], v[62:63], -v[114:115]
	v_add_f64_e32 v[56:57], v[36:37], v[56:57]
	v_add_f64_e32 v[58:59], v[38:39], v[58:59]
	v_mul_f64_e32 v[68:69], s[10:11], v[68:69]
	v_mul_f64_e32 v[70:71], s[10:11], v[70:71]
	;; [unrolled: 1-line block ×8, first 2 shown]
	v_add_f64_e64 v[144:145], v[40:41], -v[36:37]
	v_add_f64_e64 v[146:147], v[42:43], -v[38:39]
	v_add_f64_e32 v[48:49], v[64:65], v[48:49]
	v_add_f64_e32 v[50:51], v[66:67], v[50:51]
	;; [unrolled: 1-line block ×4, first 2 shown]
	v_mul_f64_e32 v[124:125], s[10:11], v[124:125]
	v_mul_f64_e32 v[126:127], s[10:11], v[126:127]
	;; [unrolled: 1-line block ×6, first 2 shown]
	v_add_f64_e32 v[36:37], v[28:29], v[52:53]
	v_add_f64_e32 v[38:39], v[30:31], v[54:55]
	v_add_f64_e64 v[28:29], v[112:113], -v[108:109]
	v_add_f64_e64 v[30:31], v[114:115], -v[110:111]
	v_mul_f64_e32 v[108:109], s[6:7], v[60:61]
	v_mul_f64_e32 v[110:111], s[6:7], v[62:63]
	v_add_f64_e32 v[40:41], v[56:57], v[40:41]
	v_add_f64_e32 v[42:43], v[58:59], v[42:43]
	v_fma_f64 v[56:57], v[76:77], s[6:7], v[68:69]
	v_fma_f64 v[58:59], v[78:79], s[6:7], v[70:71]
	;; [unrolled: 1-line block ×4, first 2 shown]
	s_wait_alu 0xfffe
	v_fma_f64 v[44:45], v[44:45], s[22:23], -v[140:141]
	v_fma_f64 v[46:47], v[46:47], s[22:23], -v[142:143]
	;; [unrolled: 1-line block ×8, first 2 shown]
	v_fma_f64 v[72:73], v[72:73], s[12:13], v[32:33]
	v_fma_f64 v[74:75], v[74:75], s[12:13], v[34:35]
	;; [unrolled: 1-line block ×6, first 2 shown]
	v_fma_f64 v[120:121], v[144:145], s[22:23], -v[148:149]
	v_fma_f64 v[122:123], v[146:147], s[22:23], -v[150:151]
	v_fma_f64 v[52:53], v[52:53], s[12:13], v[36:37]
	v_fma_f64 v[54:55], v[54:55], s[12:13], v[38:39]
	v_fma_f64 v[124:125], v[28:29], s[18:19], -v[124:125]
	v_fma_f64 v[126:127], v[30:31], s[18:19], -v[126:127]
	;; [unrolled: 1-line block ×6, first 2 shown]
	v_fma_f64 v[76:77], v[48:49], s[24:25], v[76:77]
	v_fma_f64 v[78:79], v[50:51], s[24:25], v[78:79]
	;; [unrolled: 1-line block ×6, first 2 shown]
	v_add_f64_e32 v[128:129], v[56:57], v[72:73]
	v_add_f64_e32 v[130:131], v[58:59], v[74:75]
	v_add_f64_e32 v[56:57], v[68:69], v[72:73]
	v_add_f64_e32 v[58:59], v[70:71], v[74:75]
	v_add_f64_e32 v[64:65], v[64:65], v[72:73]
	v_add_f64_e32 v[66:67], v[66:67], v[74:75]
	v_fma_f64 v[112:113], v[40:41], s[24:25], v[112:113]
	v_fma_f64 v[114:115], v[42:43], s[24:25], v[114:115]
	v_fma_f64 v[120:121], v[40:41], s[24:25], v[120:121]
	v_fma_f64 v[122:123], v[42:43], s[24:25], v[122:123]
	v_add_f64_e32 v[132:133], v[60:61], v[52:53]
	v_add_f64_e32 v[134:135], v[62:63], v[54:55]
	;; [unrolled: 1-line block ×4, first 2 shown]
	v_fma_f64 v[116:117], v[40:41], s[24:25], v[116:117]
	v_fma_f64 v[118:119], v[42:43], s[24:25], v[118:119]
	v_add_f64_e32 v[28:29], v[28:29], v[52:53]
	v_add_f64_e32 v[30:31], v[30:31], v[54:55]
	;; [unrolled: 1-line block ×3, first 2 shown]
	v_add_f64_e64 v[42:43], v[130:131], -v[76:77]
	v_add_f64_e32 v[44:45], v[110:111], v[56:57]
	v_add_f64_e64 v[46:47], v[58:59], -v[108:109]
	v_add_f64_e64 v[48:49], v[64:65], -v[82:83]
	v_add_f64_e32 v[50:51], v[80:81], v[66:67]
	v_add_f64_e32 v[52:53], v[82:83], v[64:65]
	v_add_f64_e64 v[54:55], v[66:67], -v[80:81]
	v_add_f64_e64 v[56:57], v[56:57], -v[110:111]
	v_add_f64_e32 v[58:59], v[108:109], v[58:59]
	v_add_f64_e64 v[60:61], v[128:129], -v[78:79]
	v_add_f64_e32 v[62:63], v[76:77], v[130:131]
	v_add_f64_e32 v[64:65], v[114:115], v[132:133]
	v_add_f64_e64 v[66:67], v[134:135], -v[112:113]
	v_add_f64_e32 v[68:69], v[122:123], v[124:125]
	v_add_f64_e64 v[70:71], v[126:127], -v[120:121]
	v_add_f64_e64 v[72:73], v[28:29], -v[118:119]
	v_add_f64_e32 v[74:75], v[116:117], v[30:31]
	v_add_f64_e32 v[76:77], v[118:119], v[28:29]
	v_add_f64_e64 v[78:79], v[30:31], -v[116:117]
	v_add_f64_e64 v[80:81], v[124:125], -v[122:123]
	v_add_f64_e32 v[82:83], v[120:121], v[126:127]
	v_add_f64_e64 v[108:109], v[132:133], -v[114:115]
	v_add_f64_e32 v[110:111], v[112:113], v[134:135]
	v_and_b32_e32 v28, 0xffff, v104
	v_and_b32_e32 v29, 0xffff, v106
	v_lshlrev_b32_e32 v104, 4, v105
	v_lshlrev_b32_e32 v105, 4, v107
	s_delay_alu instid0(VALU_DEP_4) | instskip(NEXT) | instid1(VALU_DEP_4)
	v_mul_u32_u24_e32 v30, 0x17a0, v28
	v_mul_u32_u24_e32 v31, 0x17a0, v29
	v_sub_nc_u32_e32 v28, 0, v101
	v_sub_nc_u32_e32 v29, 0, v102
	s_delay_alu instid0(VALU_DEP_4) | instskip(NEXT) | instid1(VALU_DEP_4)
	v_add3_u32 v30, 0, v30, v104
	v_add3_u32 v31, 0, v31, v105
	ds_store_b128 v30, v[32:35]
	ds_store_b128 v30, v[40:43] offset:864
	ds_store_b128 v30, v[44:47] offset:1728
	;; [unrolled: 1-line block ×6, first 2 shown]
	ds_store_b128 v31, v[36:39]
	ds_store_b128 v31, v[64:67] offset:864
	ds_store_b128 v31, v[68:71] offset:1728
	ds_store_b128 v31, v[72:75] offset:2592
	ds_store_b128 v31, v[76:79] offset:3456
	ds_store_b128 v31, v[80:83] offset:4320
	ds_store_b128 v31, v[108:111] offset:5184
	s_and_saveexec_b32 s26, s1
	s_cbranch_execz .LBB0_19
; %bb.18:
	v_lshrrev_b16 v30, 1, v94
	s_delay_alu instid0(VALU_DEP_1) | instskip(NEXT) | instid1(VALU_DEP_1)
	v_and_b32_e32 v30, 0xffff, v30
	v_mul_u32_u24_e32 v30, 0x97b5, v30
	s_delay_alu instid0(VALU_DEP_1) | instskip(NEXT) | instid1(VALU_DEP_1)
	v_lshrrev_b32_e32 v30, 20, v30
	v_mul_lo_u16 v30, v30, 54
	s_delay_alu instid0(VALU_DEP_1) | instskip(NEXT) | instid1(VALU_DEP_1)
	v_sub_nc_u16 v30, v94, v30
	v_and_b32_e32 v66, 0xffff, v30
	s_delay_alu instid0(VALU_DEP_1) | instskip(NEXT) | instid1(VALU_DEP_1)
	v_mul_u32_u24_e32 v30, 6, v66
	v_lshlrev_b32_e32 v50, 4, v30
	s_clause 0x5
	global_load_b128 v[30:33], v50, s[4:5] offset:848
	global_load_b128 v[34:37], v50, s[4:5] offset:896
	;; [unrolled: 1-line block ×6, first 2 shown]
	s_wait_loadcnt 0x5
	v_mul_f64_e32 v[54:55], v[8:9], v[32:33]
	s_wait_loadcnt 0x4
	v_mul_f64_e32 v[56:57], v[20:21], v[36:37]
	;; [unrolled: 2-line block ×4, first 2 shown]
	v_mul_f64_e32 v[32:33], v[10:11], v[32:33]
	v_mul_f64_e32 v[36:37], v[22:23], v[36:37]
	;; [unrolled: 1-line block ×4, first 2 shown]
	s_wait_loadcnt 0x1
	v_mul_f64_e32 v[62:63], v[18:19], v[48:49]
	s_wait_loadcnt 0x0
	v_mul_f64_e32 v[64:65], v[14:15], v[52:53]
	v_mul_f64_e32 v[52:53], v[12:13], v[52:53]
	;; [unrolled: 1-line block ×3, first 2 shown]
	v_fma_f64 v[10:11], v[10:11], v[30:31], -v[54:55]
	v_fma_f64 v[22:23], v[22:23], v[34:35], -v[56:57]
	;; [unrolled: 1-line block ×4, first 2 shown]
	v_fma_f64 v[8:9], v[8:9], v[30:31], v[32:33]
	v_fma_f64 v[20:21], v[20:21], v[34:35], v[36:37]
	;; [unrolled: 1-line block ×6, first 2 shown]
	v_fma_f64 v[14:15], v[14:15], v[50:51], -v[52:53]
	v_fma_f64 v[18:19], v[18:19], v[46:47], -v[48:49]
	v_add_f64_e32 v[30:31], v[10:11], v[22:23]
	v_add_f64_e64 v[10:11], v[10:11], -v[22:23]
	v_add_f64_e32 v[32:33], v[2:3], v[26:27]
	v_add_f64_e32 v[34:35], v[8:9], v[20:21]
	v_add_f64_e64 v[8:9], v[8:9], -v[20:21]
	v_add_f64_e32 v[36:37], v[0:1], v[24:25]
	v_add_f64_e64 v[38:39], v[16:17], -v[12:13]
	v_add_f64_e32 v[12:13], v[12:13], v[16:17]
	v_add_f64_e32 v[20:21], v[14:15], v[18:19]
	v_add_f64_e64 v[16:17], v[0:1], -v[24:25]
	v_add_f64_e64 v[14:15], v[18:19], -v[14:15]
	;; [unrolled: 1-line block ×3, first 2 shown]
	v_add_f64_e32 v[0:1], v[30:31], v[32:33]
	v_add_f64_e32 v[2:3], v[34:35], v[36:37]
	v_add_f64_e64 v[22:23], v[38:39], -v[8:9]
	v_add_f64_e64 v[26:27], v[36:37], -v[12:13]
	;; [unrolled: 1-line block ×4, first 2 shown]
	v_add_f64_e32 v[8:9], v[38:39], v[8:9]
	v_add_f64_e64 v[44:45], v[10:11], -v[18:19]
	v_add_f64_e64 v[38:39], v[16:17], -v[38:39]
	v_add_f64_e32 v[42:43], v[20:21], v[0:1]
	v_add_f64_e64 v[20:21], v[20:21], -v[30:31]
	v_add_f64_e64 v[0:1], v[14:15], -v[10:11]
	v_add_f64_e32 v[10:11], v[14:15], v[10:11]
	v_add_f64_e32 v[46:47], v[12:13], v[2:3]
	v_add_f64_e64 v[12:13], v[12:13], -v[34:35]
	v_mul_f64_e32 v[22:23], s[14:15], v[22:23]
	v_mul_f64_e32 v[26:27], s[10:11], v[26:27]
	;; [unrolled: 1-line block ×4, first 2 shown]
	v_add_f64_e64 v[14:15], v[18:19], -v[14:15]
	v_mul_f64_e32 v[50:51], s[2:3], v[44:45]
	v_add_f64_e32 v[8:9], v[8:9], v[16:17]
	v_add_f64_e32 v[2:3], v[6:7], v[42:43]
	v_add_f64_e64 v[6:7], v[30:31], -v[32:33]
	v_mul_f64_e32 v[30:31], s[6:7], v[20:21]
	v_mul_f64_e32 v[32:33], s[14:15], v[0:1]
	v_add_f64_e32 v[0:1], v[4:5], v[46:47]
	v_add_f64_e64 v[4:5], v[34:35], -v[36:37]
	v_mul_f64_e32 v[34:35], s[6:7], v[12:13]
	v_add_f64_e32 v[10:11], v[10:11], v[18:19]
	v_fma_f64 v[16:17], v[38:39], s[20:21], v[22:23]
	v_fma_f64 v[18:19], v[20:21], s[6:7], v[24:25]
	;; [unrolled: 1-line block ×3, first 2 shown]
	v_fma_f64 v[20:21], v[38:39], s[22:23], -v[48:49]
	v_fma_f64 v[22:23], v[40:41], s[2:3], -v[22:23]
	v_fma_f64 v[36:37], v[42:43], s[12:13], v[2:3]
	v_fma_f64 v[24:25], v[6:7], s[18:19], -v[24:25]
	v_fma_f64 v[6:7], v[6:7], s[16:17], -v[30:31]
	v_fma_f64 v[30:31], v[14:15], s[20:21], v[32:33]
	v_fma_f64 v[38:39], v[46:47], s[12:13], v[0:1]
	v_fma_f64 v[14:15], v[14:15], s[22:23], -v[50:51]
	v_fma_f64 v[26:27], v[4:5], s[18:19], -v[26:27]
	;; [unrolled: 1-line block ×4, first 2 shown]
	v_fma_f64 v[16:17], v[8:9], s[24:25], v[16:17]
	v_fma_f64 v[20:21], v[8:9], s[24:25], v[20:21]
	;; [unrolled: 1-line block ×3, first 2 shown]
	v_add_f64_e32 v[34:35], v[18:19], v[36:37]
	v_add_f64_e32 v[22:23], v[24:25], v[36:37]
	;; [unrolled: 1-line block ×3, first 2 shown]
	v_fma_f64 v[30:31], v[10:11], s[24:25], v[30:31]
	v_add_f64_e32 v[40:41], v[12:13], v[38:39]
	v_fma_f64 v[36:37], v[10:11], s[24:25], v[14:15]
	v_add_f64_e32 v[42:43], v[26:27], v[38:39]
	;; [unrolled: 2-line block ×3, first 2 shown]
	v_add_f64_e64 v[26:27], v[34:35], -v[16:17]
	v_add_f64_e32 v[10:11], v[20:21], v[22:23]
	v_add_f64_e64 v[22:23], v[22:23], -v[20:21]
	v_add_f64_e32 v[6:7], v[16:17], v[34:35]
	v_add_f64_e32 v[24:25], v[30:31], v[40:41]
	v_add_f64_e64 v[14:15], v[18:19], -v[8:9]
	v_add_f64_e32 v[20:21], v[36:37], v[42:43]
	v_add_f64_e32 v[18:19], v[8:9], v[18:19]
	v_add_f64_e64 v[16:17], v[4:5], -v[32:33]
	v_add_f64_e32 v[12:13], v[32:33], v[4:5]
	v_add_f64_e64 v[8:9], v[42:43], -v[36:37]
	v_add_f64_e64 v[4:5], v[40:41], -v[30:31]
	v_lshl_add_u32 v30, v66, 4, 0
	ds_store_b128 v30, v[0:3] offset:24192
	ds_store_b128 v30, v[24:27] offset:25056
	;; [unrolled: 1-line block ×7, first 2 shown]
.LBB0_19:
	s_wait_alu 0xfffe
	s_or_b32 exec_lo, exec_lo, s26
	v_dual_mov_b32 v1, 0 :: v_dual_lshlrev_b32 v0, 2, v84
	global_wb scope:SCOPE_SE
	s_wait_dscnt 0x0
	s_barrier_signal -1
	s_barrier_wait -1
	global_inv scope:SCOPE_SE
	v_lshlrev_b64_e32 v[2:3], 4, v[0:1]
	v_lshlrev_b32_e32 v0, 2, v88
	v_add_nc_u32_e32 v12, v99, v28
	s_mov_b32 s2, 0x134454ff
	s_mov_b32 s3, 0xbfee6f0e
	;; [unrolled: 1-line block ×3, first 2 shown]
	v_lshlrev_b64_e32 v[6:7], 4, v[0:1]
	v_add_co_u32 v10, s1, s4, v2
	v_lshlrev_b32_e32 v0, 2, v94
	s_wait_alu 0xf1ff
	v_add_co_ci_u32_e64 v11, s1, s5, v3, s1
	s_delay_alu instid0(VALU_DEP_4) | instskip(NEXT) | instid1(VALU_DEP_3)
	v_add_co_u32 v25, s1, s4, v6
	v_lshlrev_b64_e32 v[38:39], 4, v[0:1]
	global_load_b128 v[2:5], v[10:11], off offset:6016
	s_wait_alu 0xf1ff
	v_add_co_ci_u32_e64 v26, s1, s5, v7, s1
	s_clause 0x5
	global_load_b128 v[6:9], v[10:11], off offset:6032
	global_load_b128 v[13:16], v[10:11], off offset:6048
	global_load_b128 v[17:20], v[10:11], off offset:6064
	global_load_b128 v[21:24], v[25:26], off offset:6048
	global_load_b128 v[30:33], v[25:26], off offset:6016
	global_load_b128 v[34:37], v[25:26], off offset:6032
	v_add_co_u32 v10, s1, s4, v38
	s_wait_alu 0xf1ff
	v_add_co_ci_u32_e64 v11, s1, s5, v39, s1
	s_clause 0x4
	global_load_b128 v[38:41], v[25:26], off offset:6064
	global_load_b128 v[42:45], v[10:11], off offset:6016
	;; [unrolled: 1-line block ×5, first 2 shown]
	v_add_nc_u32_e32 v11, v100, v29
	v_lshl_add_u32 v10, v90, 4, 0
	ds_load_b128 v[58:61], v11
	ds_load_b128 v[62:65], v10
	ds_load_b128 v[66:69], v96 offset:18144
	ds_load_b128 v[70:73], v96 offset:24192
	;; [unrolled: 1-line block ×10, first 2 shown]
	ds_load_b128 v[120:123], v12
	ds_load_b128 v[124:127], v96
	s_wait_alu 0xfffe
	s_mov_b32 s6, s2
	s_mov_b32 s10, 0x4755a5e
	;; [unrolled: 1-line block ×4, first 2 shown]
	s_wait_alu 0xfffe
	s_mov_b32 s12, s10
	s_wait_loadcnt_dscnt 0xb0d
	v_mul_f64_e32 v[82:83], v[60:61], v[4:5]
	v_mul_f64_e32 v[4:5], v[58:59], v[4:5]
	s_wait_loadcnt_dscnt 0xa0c
	v_mul_f64_e32 v[128:129], v[64:65], v[8:9]
	s_wait_loadcnt_dscnt 0x90b
	v_mul_f64_e32 v[130:131], v[68:69], v[15:16]
	v_mul_f64_e32 v[8:9], v[62:63], v[8:9]
	;; [unrolled: 1-line block ×3, first 2 shown]
	s_wait_loadcnt_dscnt 0x80a
	v_mul_f64_e32 v[132:133], v[72:73], v[19:20]
	v_mul_f64_e32 v[19:20], v[70:71], v[19:20]
	s_wait_loadcnt_dscnt 0x609
	v_mul_f64_e32 v[134:135], v[76:77], v[32:33]
	s_wait_loadcnt_dscnt 0x508
	v_mul_f64_e32 v[136:137], v[80:81], v[36:37]
	s_wait_dscnt 0x7
	v_mul_f64_e32 v[138:139], v[106:107], v[23:24]
	v_mul_f64_e32 v[32:33], v[74:75], v[32:33]
	;; [unrolled: 1-line block ×4, first 2 shown]
	s_wait_loadcnt_dscnt 0x406
	v_mul_f64_e32 v[140:141], v[110:111], v[40:41]
	v_mul_f64_e32 v[40:41], v[108:109], v[40:41]
	s_wait_loadcnt_dscnt 0x305
	v_mul_f64_e32 v[142:143], v[27:28], v[44:45]
	s_wait_loadcnt_dscnt 0x204
	;; [unrolled: 2-line block ×3, first 2 shown]
	v_mul_f64_e32 v[146:147], v[114:115], v[52:53]
	v_mul_f64_e32 v[44:45], v[25:26], v[44:45]
	;; [unrolled: 1-line block ×4, first 2 shown]
	s_wait_loadcnt_dscnt 0x2
	v_mul_f64_e32 v[148:149], v[118:119], v[56:57]
	v_mul_f64_e32 v[56:57], v[116:117], v[56:57]
	v_fma_f64 v[58:59], v[58:59], v[2:3], v[82:83]
	v_fma_f64 v[60:61], v[60:61], v[2:3], -v[4:5]
	v_fma_f64 v[62:63], v[62:63], v[6:7], v[128:129]
	v_fma_f64 v[66:67], v[66:67], v[13:14], v[130:131]
	v_fma_f64 v[64:65], v[64:65], v[6:7], -v[8:9]
	ds_load_b128 v[6:9], v103
	v_fma_f64 v[13:14], v[68:69], v[13:14], -v[15:16]
	v_fma_f64 v[2:3], v[70:71], v[17:18], v[132:133]
	v_fma_f64 v[4:5], v[72:73], v[17:18], -v[19:20]
	v_fma_f64 v[15:16], v[74:75], v[30:31], v[134:135]
	v_fma_f64 v[17:18], v[78:79], v[34:35], v[136:137]
	;; [unrolled: 1-line block ×3, first 2 shown]
	v_fma_f64 v[29:30], v[76:77], v[30:31], -v[32:33]
	v_fma_f64 v[33:34], v[80:81], v[34:35], -v[36:37]
	v_fma_f64 v[21:22], v[106:107], v[21:22], -v[23:24]
	v_fma_f64 v[31:32], v[108:109], v[38:39], v[140:141]
	v_fma_f64 v[23:24], v[110:111], v[38:39], -v[40:41]
	v_fma_f64 v[25:26], v[25:26], v[42:43], v[142:143]
	v_fma_f64 v[35:36], v[99:100], v[46:47], v[144:145]
	;; [unrolled: 1-line block ×3, first 2 shown]
	v_fma_f64 v[27:28], v[27:28], v[42:43], -v[44:45]
	v_fma_f64 v[41:42], v[101:102], v[46:47], -v[48:49]
	;; [unrolled: 1-line block ×3, first 2 shown]
	v_fma_f64 v[39:40], v[116:117], v[54:55], v[148:149]
	v_fma_f64 v[45:46], v[118:119], v[54:55], -v[56:57]
	global_wb scope:SCOPE_SE
	s_wait_dscnt 0x0
	s_barrier_signal -1
	s_barrier_wait -1
	global_inv scope:SCOPE_SE
	v_add_f64_e32 v[49:50], v[124:125], v[58:59]
	v_add_f64_e32 v[104:105], v[126:127], v[60:61]
	v_add_f64_e64 v[72:73], v[58:59], -v[62:63]
	v_add_f64_e32 v[47:48], v[62:63], v[66:67]
	v_add_f64_e64 v[80:81], v[62:63], -v[58:59]
	v_add_f64_e64 v[110:111], v[62:63], -v[66:67]
	v_add_f64_e32 v[55:56], v[64:65], v[13:14]
	v_add_f64_e32 v[51:52], v[58:59], v[2:3]
	;; [unrolled: 1-line block ×3, first 2 shown]
	v_add_f64_e64 v[53:54], v[60:61], -v[4:5]
	v_add_f64_e64 v[76:77], v[2:3], -v[66:67]
	v_add_f64_e32 v[74:75], v[17:18], v[19:20]
	v_add_f64_e64 v[99:100], v[66:67], -v[2:3]
	v_add_f64_e64 v[57:58], v[58:59], -v[2:3]
	v_add_f64_e32 v[82:83], v[33:34], v[21:22]
	v_add_f64_e32 v[78:79], v[15:16], v[31:32]
	;; [unrolled: 1-line block ×7, first 2 shown]
	v_add_f64_e64 v[68:69], v[64:65], -v[13:14]
	v_add_f64_e32 v[112:113], v[41:42], v[43:44]
	v_add_f64_e32 v[108:109], v[25:26], v[39:40]
	;; [unrolled: 1-line block ×3, first 2 shown]
	v_add_f64_e64 v[116:117], v[60:61], -v[64:65]
	v_add_f64_e64 v[118:119], v[4:5], -v[13:14]
	v_add_f64_e32 v[148:149], v[6:7], v[25:26]
	v_add_f64_e64 v[132:133], v[29:30], -v[23:24]
	v_add_f64_e64 v[136:137], v[15:16], -v[17:18]
	;; [unrolled: 1-line block ×12, first 2 shown]
	v_add_f64_e32 v[49:50], v[49:50], v[62:63]
	v_fma_f64 v[47:48], v[47:48], -0.5, v[124:125]
	v_add_f64_e32 v[63:64], v[104:105], v[64:65]
	v_add_f64_e64 v[138:139], v[31:32], -v[19:20]
	v_fma_f64 v[55:56], v[55:56], -0.5, v[126:127]
	v_fma_f64 v[51:52], v[51:52], -0.5, v[124:125]
	;; [unrolled: 1-line block ×3, first 2 shown]
	v_add_f64_e64 v[142:143], v[19:20], -v[31:32]
	v_add_f64_e64 v[152:153], v[29:30], -v[33:34]
	v_fma_f64 v[74:75], v[74:75], -0.5, v[120:121]
	v_add_f64_e64 v[29:30], v[33:34], -v[29:30]
	v_add_f64_e64 v[126:127], v[21:22], -v[23:24]
	v_fma_f64 v[82:83], v[82:83], -0.5, v[122:123]
	v_fma_f64 v[78:79], v[78:79], -0.5, v[120:121]
	;; [unrolled: 1-line block ×3, first 2 shown]
	v_add_f64_e64 v[120:121], v[41:42], -v[43:44]
	v_add_f64_e64 v[160:161], v[27:28], -v[41:42]
	v_fma_f64 v[106:107], v[106:107], -0.5, v[6:7]
	v_add_f64_e64 v[27:28], v[41:42], -v[27:28]
	v_add_f64_e64 v[164:165], v[43:44], -v[45:46]
	v_fma_f64 v[112:113], v[112:113], -0.5, v[8:9]
	v_fma_f64 v[6:7], v[108:109], -0.5, v[6:7]
	v_add_f64_e64 v[108:109], v[35:36], -v[37:38]
	v_fma_f64 v[8:9], v[114:115], -0.5, v[8:9]
	v_add_f64_e64 v[114:115], v[37:38], -v[39:40]
	v_add_f64_e32 v[61:62], v[72:73], v[76:77]
	v_add_f64_e32 v[72:73], v[80:81], v[99:100]
	;; [unrolled: 1-line block ×7, first 2 shown]
	v_add_f64_e64 v[124:125], v[23:24], -v[21:22]
	v_add_f64_e32 v[59:60], v[59:60], v[128:129]
	v_add_f64_e64 v[122:123], v[39:40], -v[37:38]
	v_add_f64_e64 v[162:163], v[45:46], -v[43:44]
	v_fma_f64 v[80:81], v[53:54], s[2:3], v[47:48]
	v_fma_f64 v[47:48], v[53:54], s[6:7], v[47:48]
	v_add_f64_e32 v[13:14], v[63:64], v[13:14]
	v_fma_f64 v[104:105], v[57:58], s[6:7], v[55:56]
	v_fma_f64 v[99:100], v[68:69], s[6:7], v[51:52]
	;; [unrolled: 1-line block ×22, first 2 shown]
	v_add_f64_e32 v[114:115], v[25:26], v[114:115]
	v_add_f64_e32 v[25:26], v[49:50], v[66:67]
	v_add_f64_e32 v[136:137], v[136:137], v[138:139]
	v_add_f64_e32 v[138:139], v[140:141], v[142:143]
	v_add_f64_e32 v[126:127], v[29:30], v[126:127]
	v_add_f64_e32 v[142:143], v[27:28], v[164:165]
	v_add_f64_e32 v[17:18], v[17:18], v[19:20]
	v_add_f64_e32 v[19:20], v[33:34], v[21:22]
	v_add_f64_e32 v[27:28], v[41:42], v[43:44]
	v_add_f64_e32 v[21:22], v[35:36], v[37:38]
	v_add_f64_e32 v[124:125], v[152:153], v[124:125]
	v_add_f64_e32 v[122:123], v[156:157], v[122:123]
	v_add_f64_e32 v[140:141], v[160:161], v[162:163]
	v_fma_f64 v[29:30], v[68:69], s[10:11], v[80:81]
	s_wait_alu 0xfffe
	v_fma_f64 v[33:34], v[68:69], s[12:13], v[47:48]
	s_mov_b32 s2, 0x372fe950
	v_fma_f64 v[41:42], v[110:111], s[12:13], v[104:105]
	v_fma_f64 v[35:36], v[53:54], s[10:11], v[99:100]
	;; [unrolled: 1-line block ×22, first 2 shown]
	s_mov_b32 s3, 0x3fd3c6ef
	v_add_f64_e32 v[2:3], v[25:26], v[2:3]
	v_add_f64_e32 v[4:5], v[13:14], v[4:5]
	;; [unrolled: 1-line block ×6, first 2 shown]
	s_wait_alu 0xfffe
	v_fma_f64 v[17:18], v[61:62], s[2:3], v[29:30]
	v_fma_f64 v[21:22], v[61:62], s[2:3], v[33:34]
	;; [unrolled: 1-line block ×24, first 2 shown]
	s_mov_b32 s2, exec_lo
	ds_store_b128 v96, v[2:5]
	ds_store_b128 v96, v[17:20] offset:6048
	ds_store_b128 v96, v[25:28] offset:12096
	ds_store_b128 v96, v[29:32] offset:18144
	ds_store_b128 v96, v[21:24] offset:24192
	ds_store_b128 v12, v[6:9]
	ds_store_b128 v12, v[33:36] offset:6048
	ds_store_b128 v12, v[41:44] offset:12096
	ds_store_b128 v12, v[45:48] offset:18144
	ds_store_b128 v12, v[37:40] offset:24192
	;; [unrolled: 5-line block ×3, first 2 shown]
	global_wb scope:SCOPE_SE
	s_wait_dscnt 0x0
	s_barrier_signal -1
	s_barrier_wait -1
	global_inv scope:SCOPE_SE
	ds_load_b128 v[4:7], v96
	v_sub_nc_u32_e32 v13, 0, v85
                                        ; implicit-def: $vgpr2_vgpr3
                                        ; implicit-def: $vgpr8_vgpr9
	v_cmpx_ne_u32_e32 0, v84
	s_wait_alu 0xfffe
	s_xor_b32 s2, exec_lo, s2
	s_cbranch_execz .LBB0_21
; %bb.20:
	v_mov_b32_e32 v85, v1
	s_delay_alu instid0(VALU_DEP_1) | instskip(NEXT) | instid1(VALU_DEP_1)
	v_lshlrev_b64_e32 v[0:1], 4, v[84:85]
	v_add_co_u32 v0, s1, s4, v0
	s_wait_alu 0xf1ff
	s_delay_alu instid0(VALU_DEP_2)
	v_add_co_ci_u32_e64 v1, s1, s5, v1, s1
	global_load_b128 v[14:17], v[0:1], off offset:30208
	ds_load_b128 v[0:3], v13 offset:30240
	s_wait_dscnt 0x0
	v_add_f64_e64 v[8:9], v[4:5], -v[0:1]
	v_add_f64_e32 v[18:19], v[6:7], v[2:3]
	v_add_f64_e64 v[2:3], v[6:7], -v[2:3]
	v_add_f64_e32 v[0:1], v[4:5], v[0:1]
	s_delay_alu instid0(VALU_DEP_4) | instskip(NEXT) | instid1(VALU_DEP_4)
	v_mul_f64_e32 v[6:7], 0.5, v[8:9]
	v_mul_f64_e32 v[4:5], 0.5, v[18:19]
	s_delay_alu instid0(VALU_DEP_4) | instskip(SKIP_1) | instid1(VALU_DEP_3)
	v_mul_f64_e32 v[2:3], 0.5, v[2:3]
	s_wait_loadcnt 0x0
	v_mul_f64_e32 v[8:9], v[6:7], v[16:17]
	s_delay_alu instid0(VALU_DEP_2) | instskip(SKIP_1) | instid1(VALU_DEP_3)
	v_fma_f64 v[18:19], v[4:5], v[16:17], v[2:3]
	v_fma_f64 v[2:3], v[4:5], v[16:17], -v[2:3]
	v_fma_f64 v[20:21], v[0:1], 0.5, v[8:9]
	v_fma_f64 v[0:1], v[0:1], 0.5, -v[8:9]
	s_delay_alu instid0(VALU_DEP_4) | instskip(NEXT) | instid1(VALU_DEP_4)
	v_fma_f64 v[8:9], -v[14:15], v[6:7], v[18:19]
	v_fma_f64 v[2:3], -v[14:15], v[6:7], v[2:3]
	s_delay_alu instid0(VALU_DEP_4) | instskip(NEXT) | instid1(VALU_DEP_4)
	v_fma_f64 v[16:17], v[4:5], v[14:15], v[20:21]
	v_fma_f64 v[0:1], -v[4:5], v[14:15], v[0:1]
                                        ; implicit-def: $vgpr4_vgpr5
	ds_store_b64 v96, v[16:17]
.LBB0_21:
	s_wait_alu 0xfffe
	s_or_saveexec_b32 s1, s2
	v_sub_nc_u32_e32 v14, 0, v89
	v_sub_nc_u32_e32 v15, 0, v95
	s_wait_alu 0xfffe
	s_xor_b32 exec_lo, exec_lo, s1
	s_cbranch_execz .LBB0_23
; %bb.22:
	s_wait_dscnt 0x0
	v_add_f64_e32 v[16:17], v[4:5], v[6:7]
	v_add_f64_e64 v[0:1], v[4:5], -v[6:7]
	v_mov_b32_e32 v6, 0
	v_mov_b32_e32 v8, 0
	;; [unrolled: 1-line block ×3, first 2 shown]
	s_delay_alu instid0(VALU_DEP_2)
	v_mov_b32_e32 v2, v8
	ds_load_b64 v[4:5], v6 offset:15128
	v_mov_b32_e32 v3, v9
	s_wait_dscnt 0x0
	v_xor_b32_e32 v5, 0x80000000, v5
	ds_store_b64 v96, v[16:17]
	ds_store_b64 v6, v[4:5] offset:15128
.LBB0_23:
	s_or_b32 exec_lo, exec_lo, s1
	v_dual_mov_b32 v89, 0 :: v_dual_add_nc_u32 v14, v97, v14
	s_wait_dscnt 0x0
	s_delay_alu instid0(VALU_DEP_1) | instskip(SKIP_1) | instid1(VALU_DEP_1)
	v_lshlrev_b64_e32 v[4:5], 4, v[88:89]
	v_mov_b32_e32 v95, v89
	v_lshlrev_b64_e32 v[16:17], 4, v[94:95]
	v_mov_b32_e32 v94, v89
	s_delay_alu instid0(VALU_DEP_4) | instskip(SKIP_2) | instid1(VALU_DEP_4)
	v_add_co_u32 v4, s1, s4, v4
	s_wait_alu 0xf1ff
	v_add_co_ci_u32_e64 v5, s1, s5, v5, s1
	v_add_co_u32 v16, s1, s4, v16
	s_wait_alu 0xf1ff
	v_add_co_ci_u32_e64 v17, s1, s5, v17, s1
	s_clause 0x1
	global_load_b128 v[4:7], v[4:5], off offset:30208
	global_load_b128 v[16:19], v[16:17], off offset:30208
	ds_store_b64 v96, v[8:9] offset:8
	ds_store_b128 v13, v[0:3] offset:30240
	ds_load_b128 v[0:3], v12
	ds_load_b128 v[20:23], v13 offset:28224
	s_wait_dscnt 0x0
	v_add_f64_e64 v[8:9], v[0:1], -v[20:21]
	v_add_f64_e32 v[24:25], v[2:3], v[22:23]
	v_add_f64_e64 v[2:3], v[2:3], -v[22:23]
	v_add_f64_e32 v[0:1], v[0:1], v[20:21]
	s_delay_alu instid0(VALU_DEP_4) | instskip(NEXT) | instid1(VALU_DEP_4)
	v_mul_f64_e32 v[8:9], 0.5, v[8:9]
	v_mul_f64_e32 v[22:23], 0.5, v[24:25]
	s_delay_alu instid0(VALU_DEP_4) | instskip(SKIP_1) | instid1(VALU_DEP_3)
	v_mul_f64_e32 v[2:3], 0.5, v[2:3]
	s_wait_loadcnt 0x1
	v_mul_f64_e32 v[20:21], v[8:9], v[6:7]
	s_delay_alu instid0(VALU_DEP_2) | instskip(SKIP_1) | instid1(VALU_DEP_3)
	v_fma_f64 v[24:25], v[22:23], v[6:7], v[2:3]
	v_fma_f64 v[6:7], v[22:23], v[6:7], -v[2:3]
	v_fma_f64 v[26:27], v[0:1], 0.5, v[20:21]
	v_fma_f64 v[20:21], v[0:1], 0.5, -v[20:21]
	s_delay_alu instid0(VALU_DEP_4) | instskip(NEXT) | instid1(VALU_DEP_4)
	v_fma_f64 v[2:3], -v[4:5], v[8:9], v[24:25]
	v_fma_f64 v[6:7], -v[4:5], v[8:9], v[6:7]
	v_lshlrev_b64_e32 v[8:9], 4, v[93:94]
	v_mov_b32_e32 v93, v89
	s_delay_alu instid0(VALU_DEP_2) | instskip(SKIP_1) | instid1(VALU_DEP_3)
	v_add_co_u32 v8, s1, s4, v8
	s_wait_alu 0xf1ff
	v_add_co_ci_u32_e64 v9, s1, s5, v9, s1
	v_fma_f64 v[0:1], v[22:23], v[4:5], v[26:27]
	v_fma_f64 v[4:5], -v[22:23], v[4:5], v[20:21]
	global_load_b128 v[20:23], v[8:9], off offset:30208
	ds_store_b128 v12, v[0:3]
	ds_store_b128 v13, v[4:7] offset:28224
	ds_load_b128 v[0:3], v103
	ds_load_b128 v[4:7], v13 offset:26208
	s_wait_dscnt 0x0
	v_add_f64_e64 v[8:9], v[0:1], -v[4:5]
	v_add_f64_e32 v[24:25], v[2:3], v[6:7]
	v_add_f64_e64 v[2:3], v[2:3], -v[6:7]
	v_add_f64_e32 v[0:1], v[0:1], v[4:5]
	s_delay_alu instid0(VALU_DEP_4) | instskip(NEXT) | instid1(VALU_DEP_4)
	v_mul_f64_e32 v[6:7], 0.5, v[8:9]
	v_mul_f64_e32 v[8:9], 0.5, v[24:25]
	s_delay_alu instid0(VALU_DEP_4) | instskip(SKIP_1) | instid1(VALU_DEP_3)
	v_mul_f64_e32 v[2:3], 0.5, v[2:3]
	s_wait_loadcnt 0x1
	v_mul_f64_e32 v[4:5], v[6:7], v[18:19]
	s_delay_alu instid0(VALU_DEP_2) | instskip(SKIP_1) | instid1(VALU_DEP_3)
	v_fma_f64 v[24:25], v[8:9], v[18:19], v[2:3]
	v_fma_f64 v[18:19], v[8:9], v[18:19], -v[2:3]
	v_fma_f64 v[26:27], v[0:1], 0.5, v[4:5]
	v_fma_f64 v[4:5], v[0:1], 0.5, -v[4:5]
	s_delay_alu instid0(VALU_DEP_4) | instskip(NEXT) | instid1(VALU_DEP_4)
	v_fma_f64 v[2:3], -v[16:17], v[6:7], v[24:25]
	v_fma_f64 v[6:7], -v[16:17], v[6:7], v[18:19]
	s_delay_alu instid0(VALU_DEP_4) | instskip(NEXT) | instid1(VALU_DEP_4)
	v_fma_f64 v[0:1], v[8:9], v[16:17], v[26:27]
	v_fma_f64 v[4:5], -v[8:9], v[16:17], v[4:5]
	v_lshlrev_b64_e32 v[8:9], 4, v[92:93]
	s_delay_alu instid0(VALU_DEP_1) | instskip(SKIP_1) | instid1(VALU_DEP_2)
	v_add_co_u32 v8, s1, s4, v8
	s_wait_alu 0xf1ff
	v_add_co_ci_u32_e64 v9, s1, s5, v9, s1
	global_load_b128 v[16:19], v[8:9], off offset:30208
	ds_store_b128 v103, v[0:3]
	ds_store_b128 v13, v[4:7] offset:26208
	ds_load_b128 v[0:3], v11
	ds_load_b128 v[4:7], v13 offset:24192
	s_wait_dscnt 0x0
	v_add_f64_e64 v[8:9], v[0:1], -v[4:5]
	v_add_f64_e32 v[24:25], v[2:3], v[6:7]
	v_add_f64_e64 v[2:3], v[2:3], -v[6:7]
	v_add_f64_e32 v[0:1], v[0:1], v[4:5]
	s_delay_alu instid0(VALU_DEP_4) | instskip(NEXT) | instid1(VALU_DEP_4)
	v_mul_f64_e32 v[6:7], 0.5, v[8:9]
	v_mul_f64_e32 v[8:9], 0.5, v[24:25]
	s_delay_alu instid0(VALU_DEP_4) | instskip(SKIP_1) | instid1(VALU_DEP_3)
	v_mul_f64_e32 v[2:3], 0.5, v[2:3]
	s_wait_loadcnt 0x1
	v_mul_f64_e32 v[4:5], v[6:7], v[22:23]
	s_delay_alu instid0(VALU_DEP_2) | instskip(SKIP_1) | instid1(VALU_DEP_3)
	v_fma_f64 v[24:25], v[8:9], v[22:23], v[2:3]
	v_fma_f64 v[22:23], v[8:9], v[22:23], -v[2:3]
	v_fma_f64 v[26:27], v[0:1], 0.5, v[4:5]
	v_fma_f64 v[4:5], v[0:1], 0.5, -v[4:5]
	s_delay_alu instid0(VALU_DEP_4) | instskip(NEXT) | instid1(VALU_DEP_4)
	v_fma_f64 v[2:3], -v[20:21], v[6:7], v[24:25]
	v_fma_f64 v[6:7], -v[20:21], v[6:7], v[22:23]
	s_delay_alu instid0(VALU_DEP_4) | instskip(NEXT) | instid1(VALU_DEP_4)
	v_fma_f64 v[0:1], v[8:9], v[20:21], v[26:27]
	v_fma_f64 v[4:5], -v[8:9], v[20:21], v[4:5]
	v_add_nc_u32_e32 v26, v98, v15
	v_mov_b32_e32 v92, v89
	s_delay_alu instid0(VALU_DEP_1) | instskip(SKIP_1) | instid1(VALU_DEP_2)
	v_lshlrev_b64_e32 v[8:9], 4, v[91:92]
	v_mov_b32_e32 v91, v89
	v_add_co_u32 v8, s1, s4, v8
	s_wait_alu 0xf1ff
	s_delay_alu instid0(VALU_DEP_3)
	v_add_co_ci_u32_e64 v9, s1, s5, v9, s1
	global_load_b128 v[20:23], v[8:9], off offset:30208
	ds_store_b128 v11, v[0:3]
	ds_store_b128 v13, v[4:7] offset:24192
	ds_load_b128 v[0:3], v26
	ds_load_b128 v[4:7], v13 offset:22176
	s_wait_dscnt 0x0
	v_add_f64_e64 v[8:9], v[0:1], -v[4:5]
	v_add_f64_e32 v[11:12], v[2:3], v[6:7]
	v_add_f64_e64 v[2:3], v[2:3], -v[6:7]
	v_add_f64_e32 v[0:1], v[0:1], v[4:5]
	s_delay_alu instid0(VALU_DEP_4) | instskip(NEXT) | instid1(VALU_DEP_4)
	v_mul_f64_e32 v[6:7], 0.5, v[8:9]
	v_mul_f64_e32 v[8:9], 0.5, v[11:12]
	s_delay_alu instid0(VALU_DEP_4) | instskip(SKIP_1) | instid1(VALU_DEP_3)
	v_mul_f64_e32 v[2:3], 0.5, v[2:3]
	s_wait_loadcnt 0x1
	v_mul_f64_e32 v[4:5], v[6:7], v[18:19]
	s_delay_alu instid0(VALU_DEP_2) | instskip(SKIP_1) | instid1(VALU_DEP_3)
	v_fma_f64 v[11:12], v[8:9], v[18:19], v[2:3]
	v_fma_f64 v[18:19], v[8:9], v[18:19], -v[2:3]
	v_fma_f64 v[24:25], v[0:1], 0.5, v[4:5]
	v_fma_f64 v[4:5], v[0:1], 0.5, -v[4:5]
	s_delay_alu instid0(VALU_DEP_4) | instskip(NEXT) | instid1(VALU_DEP_4)
	v_fma_f64 v[2:3], -v[16:17], v[6:7], v[11:12]
	v_fma_f64 v[6:7], -v[16:17], v[6:7], v[18:19]
	s_delay_alu instid0(VALU_DEP_4) | instskip(NEXT) | instid1(VALU_DEP_4)
	v_fma_f64 v[0:1], v[8:9], v[16:17], v[24:25]
	v_fma_f64 v[4:5], -v[8:9], v[16:17], v[4:5]
	v_lshlrev_b64_e32 v[8:9], 4, v[90:91]
	s_delay_alu instid0(VALU_DEP_1) | instskip(SKIP_1) | instid1(VALU_DEP_2)
	v_add_co_u32 v8, s1, s4, v8
	s_wait_alu 0xf1ff
	v_add_co_ci_u32_e64 v9, s1, s5, v9, s1
	global_load_b128 v[15:18], v[8:9], off offset:30208
	ds_store_b128 v26, v[0:3]
	ds_store_b128 v13, v[4:7] offset:22176
	ds_load_b128 v[0:3], v14
	ds_load_b128 v[4:7], v13 offset:20160
	s_wait_dscnt 0x0
	v_add_f64_e64 v[8:9], v[0:1], -v[4:5]
	v_add_f64_e32 v[11:12], v[2:3], v[6:7]
	v_add_f64_e64 v[2:3], v[2:3], -v[6:7]
	v_add_f64_e32 v[0:1], v[0:1], v[4:5]
	s_delay_alu instid0(VALU_DEP_4) | instskip(NEXT) | instid1(VALU_DEP_4)
	v_mul_f64_e32 v[6:7], 0.5, v[8:9]
	v_mul_f64_e32 v[8:9], 0.5, v[11:12]
	s_delay_alu instid0(VALU_DEP_4) | instskip(SKIP_1) | instid1(VALU_DEP_3)
	v_mul_f64_e32 v[2:3], 0.5, v[2:3]
	s_wait_loadcnt 0x1
	v_mul_f64_e32 v[4:5], v[6:7], v[22:23]
	s_delay_alu instid0(VALU_DEP_2) | instskip(SKIP_1) | instid1(VALU_DEP_3)
	v_fma_f64 v[11:12], v[8:9], v[22:23], v[2:3]
	v_fma_f64 v[22:23], v[8:9], v[22:23], -v[2:3]
	v_fma_f64 v[24:25], v[0:1], 0.5, v[4:5]
	v_fma_f64 v[4:5], v[0:1], 0.5, -v[4:5]
	s_delay_alu instid0(VALU_DEP_4) | instskip(NEXT) | instid1(VALU_DEP_4)
	v_fma_f64 v[2:3], -v[20:21], v[6:7], v[11:12]
	v_fma_f64 v[6:7], -v[20:21], v[6:7], v[22:23]
	s_delay_alu instid0(VALU_DEP_4) | instskip(NEXT) | instid1(VALU_DEP_4)
	v_fma_f64 v[0:1], v[8:9], v[20:21], v[24:25]
	v_fma_f64 v[4:5], -v[8:9], v[20:21], v[4:5]
	ds_store_b128 v14, v[0:3]
	ds_store_b128 v13, v[4:7] offset:20160
	ds_load_b128 v[0:3], v10
	ds_load_b128 v[4:7], v13 offset:18144
	s_wait_dscnt 0x0
	v_add_f64_e64 v[8:9], v[0:1], -v[4:5]
	v_add_f64_e32 v[11:12], v[2:3], v[6:7]
	v_add_f64_e64 v[2:3], v[2:3], -v[6:7]
	v_add_f64_e32 v[0:1], v[0:1], v[4:5]
	s_delay_alu instid0(VALU_DEP_4) | instskip(NEXT) | instid1(VALU_DEP_4)
	v_mul_f64_e32 v[6:7], 0.5, v[8:9]
	v_mul_f64_e32 v[8:9], 0.5, v[11:12]
	s_delay_alu instid0(VALU_DEP_4) | instskip(SKIP_1) | instid1(VALU_DEP_3)
	v_mul_f64_e32 v[2:3], 0.5, v[2:3]
	s_wait_loadcnt 0x0
	v_mul_f64_e32 v[4:5], v[6:7], v[17:18]
	s_delay_alu instid0(VALU_DEP_2) | instskip(SKIP_1) | instid1(VALU_DEP_3)
	v_fma_f64 v[11:12], v[8:9], v[17:18], v[2:3]
	v_fma_f64 v[17:18], v[8:9], v[17:18], -v[2:3]
	v_fma_f64 v[19:20], v[0:1], 0.5, v[4:5]
	v_fma_f64 v[4:5], v[0:1], 0.5, -v[4:5]
	s_delay_alu instid0(VALU_DEP_4) | instskip(NEXT) | instid1(VALU_DEP_4)
	v_fma_f64 v[2:3], -v[15:16], v[6:7], v[11:12]
	v_fma_f64 v[6:7], -v[15:16], v[6:7], v[17:18]
	s_delay_alu instid0(VALU_DEP_4) | instskip(NEXT) | instid1(VALU_DEP_4)
	v_fma_f64 v[0:1], v[8:9], v[15:16], v[19:20]
	v_fma_f64 v[4:5], -v[8:9], v[15:16], v[4:5]
	ds_store_b128 v10, v[0:3]
	ds_store_b128 v13, v[4:7] offset:18144
	s_and_saveexec_b32 s1, s0
	s_cbranch_execz .LBB0_25
; %bb.24:
	v_mov_b32_e32 v85, v89
	s_add_nc_u64 s[2:3], s[4:5], 0x7600
	s_delay_alu instid0(VALU_DEP_1) | instskip(SKIP_1) | instid1(VALU_DEP_1)
	v_lshlrev_b64_e32 v[0:1], 4, v[84:85]
	s_wait_alu 0xfffe
	v_add_co_u32 v0, s0, s2, v0
	s_wait_alu 0xf1ff
	s_delay_alu instid0(VALU_DEP_2)
	v_add_co_ci_u32_e64 v1, s0, s3, v1, s0
	global_load_b128 v[0:3], v[0:1], off offset:14112
	ds_load_b128 v[4:7], v96 offset:14112
	ds_load_b128 v[8:11], v13 offset:16128
	s_wait_dscnt 0x0
	v_add_f64_e64 v[14:15], v[4:5], -v[8:9]
	v_add_f64_e32 v[16:17], v[6:7], v[10:11]
	v_add_f64_e64 v[6:7], v[6:7], -v[10:11]
	v_add_f64_e32 v[4:5], v[4:5], v[8:9]
	s_delay_alu instid0(VALU_DEP_4) | instskip(NEXT) | instid1(VALU_DEP_4)
	v_mul_f64_e32 v[10:11], 0.5, v[14:15]
	v_mul_f64_e32 v[14:15], 0.5, v[16:17]
	s_delay_alu instid0(VALU_DEP_4) | instskip(SKIP_1) | instid1(VALU_DEP_3)
	v_mul_f64_e32 v[6:7], 0.5, v[6:7]
	s_wait_loadcnt 0x0
	v_mul_f64_e32 v[8:9], v[10:11], v[2:3]
	s_delay_alu instid0(VALU_DEP_2) | instskip(SKIP_1) | instid1(VALU_DEP_3)
	v_fma_f64 v[16:17], v[14:15], v[2:3], v[6:7]
	v_fma_f64 v[2:3], v[14:15], v[2:3], -v[6:7]
	v_fma_f64 v[6:7], v[4:5], 0.5, v[8:9]
	v_fma_f64 v[18:19], v[4:5], 0.5, -v[8:9]
	s_delay_alu instid0(VALU_DEP_4) | instskip(NEXT) | instid1(VALU_DEP_4)
	v_fma_f64 v[4:5], -v[0:1], v[10:11], v[16:17]
	v_fma_f64 v[8:9], -v[0:1], v[10:11], v[2:3]
	s_delay_alu instid0(VALU_DEP_4) | instskip(NEXT) | instid1(VALU_DEP_4)
	v_fma_f64 v[2:3], v[14:15], v[0:1], v[6:7]
	v_fma_f64 v[6:7], -v[14:15], v[0:1], v[18:19]
	ds_store_b128 v96, v[2:5] offset:14112
	ds_store_b128 v13, v[6:9] offset:16128
.LBB0_25:
	s_wait_alu 0xfffe
	s_or_b32 exec_lo, exec_lo, s1
	global_wb scope:SCOPE_SE
	s_wait_dscnt 0x0
	s_barrier_signal -1
	s_barrier_wait -1
	global_inv scope:SCOPE_SE
	s_and_saveexec_b32 s0, vcc_lo
	s_cbranch_execz .LBB0_28
; %bb.26:
	v_mov_b32_e32 v85, 0
	v_add_co_u32 v0, vcc_lo, s8, v86
	s_wait_alu 0xfffd
	v_add_co_ci_u32_e32 v1, vcc_lo, s9, v87, vcc_lo
	s_delay_alu instid0(VALU_DEP_3)
	v_lshlrev_b64_e32 v[42:43], 4, v[84:85]
	ds_load_b128 v[2:5], v96
	ds_load_b128 v[6:9], v96 offset:2016
	ds_load_b128 v[10:13], v96 offset:4032
	;; [unrolled: 1-line block ×9, first 2 shown]
	v_add_co_u32 v62, vcc_lo, v0, v42
	s_wait_alu 0xfffd
	v_add_co_ci_u32_e32 v63, vcc_lo, v1, v43, vcc_lo
	ds_load_b128 v[42:45], v96 offset:20160
	ds_load_b128 v[46:49], v96 offset:22176
	ds_load_b128 v[50:53], v96 offset:24192
	ds_load_b128 v[54:57], v96 offset:26208
	ds_load_b128 v[58:61], v96 offset:28224
	v_cmp_eq_u32_e32 vcc_lo, 0x7d, v84
	s_wait_dscnt 0xe
	global_store_b128 v[62:63], v[2:5], off
	s_wait_dscnt 0xd
	global_store_b128 v[62:63], v[6:9], off offset:2016
	s_wait_dscnt 0xc
	global_store_b128 v[62:63], v[10:13], off offset:4032
	;; [unrolled: 2-line block ×14, first 2 shown]
	s_and_b32 exec_lo, exec_lo, vcc_lo
	s_cbranch_execz .LBB0_28
; %bb.27:
	ds_load_b128 v[2:5], v85 offset:30240
	s_wait_dscnt 0x0
	global_store_b128 v[0:1], v[2:5], off offset:30240
.LBB0_28:
	s_nop 0
	s_sendmsg sendmsg(MSG_DEALLOC_VGPRS)
	s_endpgm
	.section	.rodata,"a",@progbits
	.p2align	6, 0x0
	.amdhsa_kernel fft_rtc_back_len1890_factors_2_3_3_3_7_5_wgs_126_tpt_126_halfLds_dp_ip_CI_unitstride_sbrr_R2C_dirReg
		.amdhsa_group_segment_fixed_size 0
		.amdhsa_private_segment_fixed_size 0
		.amdhsa_kernarg_size 88
		.amdhsa_user_sgpr_count 2
		.amdhsa_user_sgpr_dispatch_ptr 0
		.amdhsa_user_sgpr_queue_ptr 0
		.amdhsa_user_sgpr_kernarg_segment_ptr 1
		.amdhsa_user_sgpr_dispatch_id 0
		.amdhsa_user_sgpr_private_segment_size 0
		.amdhsa_wavefront_size32 1
		.amdhsa_uses_dynamic_stack 0
		.amdhsa_enable_private_segment 0
		.amdhsa_system_sgpr_workgroup_id_x 1
		.amdhsa_system_sgpr_workgroup_id_y 0
		.amdhsa_system_sgpr_workgroup_id_z 0
		.amdhsa_system_sgpr_workgroup_info 0
		.amdhsa_system_vgpr_workitem_id 0
		.amdhsa_next_free_vgpr 176
		.amdhsa_next_free_sgpr 32
		.amdhsa_reserve_vcc 1
		.amdhsa_float_round_mode_32 0
		.amdhsa_float_round_mode_16_64 0
		.amdhsa_float_denorm_mode_32 3
		.amdhsa_float_denorm_mode_16_64 3
		.amdhsa_fp16_overflow 0
		.amdhsa_workgroup_processor_mode 1
		.amdhsa_memory_ordered 1
		.amdhsa_forward_progress 0
		.amdhsa_round_robin_scheduling 0
		.amdhsa_exception_fp_ieee_invalid_op 0
		.amdhsa_exception_fp_denorm_src 0
		.amdhsa_exception_fp_ieee_div_zero 0
		.amdhsa_exception_fp_ieee_overflow 0
		.amdhsa_exception_fp_ieee_underflow 0
		.amdhsa_exception_fp_ieee_inexact 0
		.amdhsa_exception_int_div_zero 0
	.end_amdhsa_kernel
	.text
.Lfunc_end0:
	.size	fft_rtc_back_len1890_factors_2_3_3_3_7_5_wgs_126_tpt_126_halfLds_dp_ip_CI_unitstride_sbrr_R2C_dirReg, .Lfunc_end0-fft_rtc_back_len1890_factors_2_3_3_3_7_5_wgs_126_tpt_126_halfLds_dp_ip_CI_unitstride_sbrr_R2C_dirReg
                                        ; -- End function
	.section	.AMDGPU.csdata,"",@progbits
; Kernel info:
; codeLenInByte = 14436
; NumSgprs: 34
; NumVgprs: 176
; ScratchSize: 0
; MemoryBound: 0
; FloatMode: 240
; IeeeMode: 1
; LDSByteSize: 0 bytes/workgroup (compile time only)
; SGPRBlocks: 4
; VGPRBlocks: 21
; NumSGPRsForWavesPerEU: 34
; NumVGPRsForWavesPerEU: 176
; Occupancy: 8
; WaveLimiterHint : 1
; COMPUTE_PGM_RSRC2:SCRATCH_EN: 0
; COMPUTE_PGM_RSRC2:USER_SGPR: 2
; COMPUTE_PGM_RSRC2:TRAP_HANDLER: 0
; COMPUTE_PGM_RSRC2:TGID_X_EN: 1
; COMPUTE_PGM_RSRC2:TGID_Y_EN: 0
; COMPUTE_PGM_RSRC2:TGID_Z_EN: 0
; COMPUTE_PGM_RSRC2:TIDIG_COMP_CNT: 0
	.text
	.p2alignl 7, 3214868480
	.fill 96, 4, 3214868480
	.type	__hip_cuid_3a26613e345b5eac,@object ; @__hip_cuid_3a26613e345b5eac
	.section	.bss,"aw",@nobits
	.globl	__hip_cuid_3a26613e345b5eac
__hip_cuid_3a26613e345b5eac:
	.byte	0                               ; 0x0
	.size	__hip_cuid_3a26613e345b5eac, 1

	.ident	"AMD clang version 19.0.0git (https://github.com/RadeonOpenCompute/llvm-project roc-6.4.0 25133 c7fe45cf4b819c5991fe208aaa96edf142730f1d)"
	.section	".note.GNU-stack","",@progbits
	.addrsig
	.addrsig_sym __hip_cuid_3a26613e345b5eac
	.amdgpu_metadata
---
amdhsa.kernels:
  - .args:
      - .actual_access:  read_only
        .address_space:  global
        .offset:         0
        .size:           8
        .value_kind:     global_buffer
      - .offset:         8
        .size:           8
        .value_kind:     by_value
      - .actual_access:  read_only
        .address_space:  global
        .offset:         16
        .size:           8
        .value_kind:     global_buffer
      - .actual_access:  read_only
        .address_space:  global
        .offset:         24
        .size:           8
        .value_kind:     global_buffer
      - .offset:         32
        .size:           8
        .value_kind:     by_value
      - .actual_access:  read_only
        .address_space:  global
        .offset:         40
        .size:           8
        .value_kind:     global_buffer
      - .actual_access:  read_only
        .address_space:  global
        .offset:         48
        .size:           8
        .value_kind:     global_buffer
      - .offset:         56
        .size:           4
        .value_kind:     by_value
      - .actual_access:  read_only
        .address_space:  global
        .offset:         64
        .size:           8
        .value_kind:     global_buffer
      - .actual_access:  read_only
        .address_space:  global
        .offset:         72
        .size:           8
        .value_kind:     global_buffer
      - .address_space:  global
        .offset:         80
        .size:           8
        .value_kind:     global_buffer
    .group_segment_fixed_size: 0
    .kernarg_segment_align: 8
    .kernarg_segment_size: 88
    .language:       OpenCL C
    .language_version:
      - 2
      - 0
    .max_flat_workgroup_size: 126
    .name:           fft_rtc_back_len1890_factors_2_3_3_3_7_5_wgs_126_tpt_126_halfLds_dp_ip_CI_unitstride_sbrr_R2C_dirReg
    .private_segment_fixed_size: 0
    .sgpr_count:     34
    .sgpr_spill_count: 0
    .symbol:         fft_rtc_back_len1890_factors_2_3_3_3_7_5_wgs_126_tpt_126_halfLds_dp_ip_CI_unitstride_sbrr_R2C_dirReg.kd
    .uniform_work_group_size: 1
    .uses_dynamic_stack: false
    .vgpr_count:     176
    .vgpr_spill_count: 0
    .wavefront_size: 32
    .workgroup_processor_mode: 1
amdhsa.target:   amdgcn-amd-amdhsa--gfx1201
amdhsa.version:
  - 1
  - 2
...

	.end_amdgpu_metadata
